;; amdgpu-corpus repo=ROCm/rocFFT kind=compiled arch=gfx950 opt=O3
	.text
	.amdgcn_target "amdgcn-amd-amdhsa--gfx950"
	.amdhsa_code_object_version 6
	.protected	fft_rtc_fwd_len2250_factors_10_3_5_3_5_wgs_90_tpt_90_halfLds_half_ip_CI_sbrr_dirReg ; -- Begin function fft_rtc_fwd_len2250_factors_10_3_5_3_5_wgs_90_tpt_90_halfLds_half_ip_CI_sbrr_dirReg
	.globl	fft_rtc_fwd_len2250_factors_10_3_5_3_5_wgs_90_tpt_90_halfLds_half_ip_CI_sbrr_dirReg
	.p2align	8
	.type	fft_rtc_fwd_len2250_factors_10_3_5_3_5_wgs_90_tpt_90_halfLds_half_ip_CI_sbrr_dirReg,@function
fft_rtc_fwd_len2250_factors_10_3_5_3_5_wgs_90_tpt_90_halfLds_half_ip_CI_sbrr_dirReg: ; @fft_rtc_fwd_len2250_factors_10_3_5_3_5_wgs_90_tpt_90_halfLds_half_ip_CI_sbrr_dirReg
; %bb.0:
	s_load_dwordx2 s[12:13], s[0:1], 0x18
	s_load_dwordx4 s[4:7], s[0:1], 0x0
	s_load_dwordx2 s[10:11], s[0:1], 0x50
	v_mul_u32_u24_e32 v1, 0x2d9, v0
	v_add_u32_sdwa v6, s2, v1 dst_sel:DWORD dst_unused:UNUSED_PAD src0_sel:DWORD src1_sel:WORD_1
	s_waitcnt lgkmcnt(0)
	s_load_dwordx2 s[8:9], s[12:13], 0x0
	v_mov_b32_e32 v4, 0
	v_cmp_lt_u64_e64 s[2:3], s[6:7], 2
	v_mov_b32_e32 v7, v4
	s_and_b64 vcc, exec, s[2:3]
	v_mov_b64_e32 v[2:3], 0
	s_cbranch_vccnz .LBB0_8
; %bb.1:
	s_load_dwordx2 s[2:3], s[0:1], 0x10
	s_add_u32 s14, s12, 8
	s_addc_u32 s15, s13, 0
	s_mov_b64 s[16:17], 1
	v_mov_b64_e32 v[2:3], 0
	s_waitcnt lgkmcnt(0)
	s_add_u32 s18, s2, 8
	s_addc_u32 s19, s3, 0
.LBB0_2:                                ; =>This Inner Loop Header: Depth=1
	s_load_dwordx2 s[20:21], s[18:19], 0x0
                                        ; implicit-def: $vgpr8_vgpr9
	s_waitcnt lgkmcnt(0)
	v_or_b32_e32 v5, s21, v7
	v_cmp_ne_u64_e32 vcc, 0, v[4:5]
	s_and_saveexec_b64 s[2:3], vcc
	s_xor_b64 s[22:23], exec, s[2:3]
	s_cbranch_execz .LBB0_4
; %bb.3:                                ;   in Loop: Header=BB0_2 Depth=1
	v_cvt_f32_u32_e32 v1, s20
	v_cvt_f32_u32_e32 v5, s21
	s_sub_u32 s2, 0, s20
	s_subb_u32 s3, 0, s21
	v_fmac_f32_e32 v1, 0x4f800000, v5
	v_rcp_f32_e32 v1, v1
	s_nop 0
	v_mul_f32_e32 v1, 0x5f7ffffc, v1
	v_mul_f32_e32 v5, 0x2f800000, v1
	v_trunc_f32_e32 v5, v5
	v_fmac_f32_e32 v1, 0xcf800000, v5
	v_cvt_u32_f32_e32 v5, v5
	v_cvt_u32_f32_e32 v1, v1
	v_mul_lo_u32 v8, s2, v5
	v_mul_hi_u32 v10, s2, v1
	v_mul_lo_u32 v9, s3, v1
	v_add_u32_e32 v10, v10, v8
	v_mul_lo_u32 v12, s2, v1
	v_add_u32_e32 v13, v10, v9
	v_mul_hi_u32 v8, v1, v12
	v_mul_hi_u32 v11, v1, v13
	v_mul_lo_u32 v10, v1, v13
	v_mov_b32_e32 v9, v4
	v_lshl_add_u64 v[8:9], v[8:9], 0, v[10:11]
	v_mul_hi_u32 v11, v5, v12
	v_mul_lo_u32 v12, v5, v12
	v_add_co_u32_e32 v8, vcc, v8, v12
	v_mul_hi_u32 v10, v5, v13
	s_nop 0
	v_addc_co_u32_e32 v8, vcc, v9, v11, vcc
	v_mov_b32_e32 v9, v4
	s_nop 0
	v_addc_co_u32_e32 v11, vcc, 0, v10, vcc
	v_mul_lo_u32 v10, v5, v13
	v_lshl_add_u64 v[8:9], v[8:9], 0, v[10:11]
	v_add_co_u32_e32 v1, vcc, v1, v8
	v_mul_lo_u32 v10, s2, v1
	s_nop 0
	v_addc_co_u32_e32 v5, vcc, v5, v9, vcc
	v_mul_lo_u32 v8, s2, v5
	v_mul_hi_u32 v9, s2, v1
	v_add_u32_e32 v8, v9, v8
	v_mul_lo_u32 v9, s3, v1
	v_add_u32_e32 v12, v8, v9
	v_mul_hi_u32 v14, v5, v10
	v_mul_lo_u32 v15, v5, v10
	v_mul_hi_u32 v9, v1, v12
	v_mul_lo_u32 v8, v1, v12
	v_mul_hi_u32 v10, v1, v10
	v_mov_b32_e32 v11, v4
	v_lshl_add_u64 v[8:9], v[10:11], 0, v[8:9]
	v_add_co_u32_e32 v8, vcc, v8, v15
	v_mul_hi_u32 v13, v5, v12
	s_nop 0
	v_addc_co_u32_e32 v8, vcc, v9, v14, vcc
	v_mul_lo_u32 v10, v5, v12
	s_nop 0
	v_addc_co_u32_e32 v11, vcc, 0, v13, vcc
	v_mov_b32_e32 v9, v4
	v_lshl_add_u64 v[8:9], v[8:9], 0, v[10:11]
	v_add_co_u32_e32 v1, vcc, v1, v8
	v_mul_hi_u32 v10, v6, v1
	s_nop 0
	v_addc_co_u32_e32 v5, vcc, v5, v9, vcc
	v_mad_u64_u32 v[8:9], s[2:3], v6, v5, 0
	v_mov_b32_e32 v11, v4
	v_lshl_add_u64 v[8:9], v[10:11], 0, v[8:9]
	v_mad_u64_u32 v[12:13], s[2:3], v7, v1, 0
	v_add_co_u32_e32 v1, vcc, v8, v12
	v_mad_u64_u32 v[10:11], s[2:3], v7, v5, 0
	s_nop 0
	v_addc_co_u32_e32 v8, vcc, v9, v13, vcc
	v_mov_b32_e32 v9, v4
	s_nop 0
	v_addc_co_u32_e32 v11, vcc, 0, v11, vcc
	v_lshl_add_u64 v[8:9], v[8:9], 0, v[10:11]
	v_mul_lo_u32 v1, s21, v8
	v_mul_lo_u32 v5, s20, v9
	v_mad_u64_u32 v[10:11], s[2:3], s20, v8, 0
	v_add3_u32 v1, v11, v5, v1
	v_sub_u32_e32 v5, v7, v1
	v_mov_b32_e32 v11, s21
	v_sub_co_u32_e32 v14, vcc, v6, v10
	v_lshl_add_u64 v[12:13], v[8:9], 0, 1
	s_nop 0
	v_subb_co_u32_e64 v5, s[2:3], v5, v11, vcc
	v_subrev_co_u32_e64 v10, s[2:3], s20, v14
	v_subb_co_u32_e32 v1, vcc, v7, v1, vcc
	s_nop 0
	v_subbrev_co_u32_e64 v5, s[2:3], 0, v5, s[2:3]
	v_cmp_le_u32_e64 s[2:3], s21, v5
	v_cmp_le_u32_e32 vcc, s21, v1
	s_nop 0
	v_cndmask_b32_e64 v11, 0, -1, s[2:3]
	v_cmp_le_u32_e64 s[2:3], s20, v10
	s_nop 1
	v_cndmask_b32_e64 v10, 0, -1, s[2:3]
	v_cmp_eq_u32_e64 s[2:3], s21, v5
	s_nop 1
	v_cndmask_b32_e64 v5, v11, v10, s[2:3]
	v_lshl_add_u64 v[10:11], v[8:9], 0, 2
	v_cmp_ne_u32_e64 s[2:3], 0, v5
	s_nop 1
	v_cndmask_b32_e64 v5, v13, v11, s[2:3]
	v_cndmask_b32_e64 v11, 0, -1, vcc
	v_cmp_le_u32_e32 vcc, s20, v14
	s_nop 1
	v_cndmask_b32_e64 v13, 0, -1, vcc
	v_cmp_eq_u32_e32 vcc, s21, v1
	s_nop 1
	v_cndmask_b32_e32 v1, v11, v13, vcc
	v_cmp_ne_u32_e32 vcc, 0, v1
	v_cndmask_b32_e64 v1, v12, v10, s[2:3]
	s_nop 0
	v_cndmask_b32_e32 v9, v9, v5, vcc
	v_cndmask_b32_e32 v8, v8, v1, vcc
.LBB0_4:                                ;   in Loop: Header=BB0_2 Depth=1
	s_andn2_saveexec_b64 s[2:3], s[22:23]
	s_cbranch_execz .LBB0_6
; %bb.5:                                ;   in Loop: Header=BB0_2 Depth=1
	v_cvt_f32_u32_e32 v1, s20
	s_sub_i32 s22, 0, s20
	v_rcp_iflag_f32_e32 v1, v1
	s_nop 0
	v_mul_f32_e32 v1, 0x4f7ffffe, v1
	v_cvt_u32_f32_e32 v1, v1
	v_mul_lo_u32 v5, s22, v1
	v_mul_hi_u32 v5, v1, v5
	v_add_u32_e32 v1, v1, v5
	v_mul_hi_u32 v1, v6, v1
	v_mul_lo_u32 v5, v1, s20
	v_sub_u32_e32 v5, v6, v5
	v_add_u32_e32 v8, 1, v1
	v_subrev_u32_e32 v9, s20, v5
	v_cmp_le_u32_e32 vcc, s20, v5
	s_nop 1
	v_cndmask_b32_e32 v5, v5, v9, vcc
	v_cndmask_b32_e32 v1, v1, v8, vcc
	v_add_u32_e32 v8, 1, v1
	v_cmp_le_u32_e32 vcc, s20, v5
	v_mov_b32_e32 v9, v4
	s_nop 0
	v_cndmask_b32_e32 v8, v1, v8, vcc
.LBB0_6:                                ;   in Loop: Header=BB0_2 Depth=1
	s_or_b64 exec, exec, s[2:3]
	v_mad_u64_u32 v[10:11], s[2:3], v8, s20, 0
	s_load_dwordx2 s[2:3], s[14:15], 0x0
	v_mul_lo_u32 v1, v9, s20
	v_mul_lo_u32 v5, v8, s21
	v_add3_u32 v1, v11, v5, v1
	v_sub_co_u32_e32 v5, vcc, v6, v10
	s_add_u32 s16, s16, 1
	s_nop 0
	v_subb_co_u32_e32 v1, vcc, v7, v1, vcc
	s_addc_u32 s17, s17, 0
	s_waitcnt lgkmcnt(0)
	v_mul_lo_u32 v1, s2, v1
	v_mul_lo_u32 v6, s3, v5
	v_mad_u64_u32 v[2:3], s[2:3], s2, v5, v[2:3]
	s_add_u32 s14, s14, 8
	v_add3_u32 v3, v6, v3, v1
	s_addc_u32 s15, s15, 0
	v_mov_b64_e32 v[6:7], s[6:7]
	s_add_u32 s18, s18, 8
	v_cmp_ge_u64_e32 vcc, s[16:17], v[6:7]
	s_addc_u32 s19, s19, 0
	s_cbranch_vccnz .LBB0_9
; %bb.7:                                ;   in Loop: Header=BB0_2 Depth=1
	v_mov_b64_e32 v[6:7], v[8:9]
	s_branch .LBB0_2
.LBB0_8:
	v_mov_b64_e32 v[8:9], v[6:7]
.LBB0_9:
	s_lshl_b64 s[2:3], s[6:7], 3
	s_add_u32 s2, s12, s2
	s_addc_u32 s3, s13, s3
	s_load_dwordx2 s[6:7], s[2:3], 0x0
	s_load_dwordx2 s[12:13], s[0:1], 0x20
	s_mov_b32 s2, 0x2d82d83
	s_waitcnt lgkmcnt(0)
	v_mul_lo_u32 v1, s6, v9
	v_mul_lo_u32 v4, s7, v8
	v_mad_u64_u32 v[2:3], s[0:1], s6, v8, v[2:3]
	v_add3_u32 v3, v4, v3, v1
	v_mul_hi_u32 v1, v0, s2
	v_mul_u32_u24_e32 v1, 0x5a, v1
	v_cmp_gt_u64_e32 vcc, s[12:13], v[8:9]
	v_cmp_le_u64_e64 s[0:1], s[12:13], v[8:9]
	v_sub_u32_e32 v8, v0, v1
                                        ; implicit-def: $vgpr9
	s_and_saveexec_b64 s[2:3], s[0:1]
	s_xor_b64 s[0:1], exec, s[2:3]
; %bb.10:
	v_add_u32_e32 v9, 0x5a, v8
; %bb.11:
	s_or_saveexec_b64 s[2:3], s[0:1]
	v_lshl_add_u64 v[4:5], v[2:3], 2, s[10:11]
                                        ; implicit-def: $vgpr39
                                        ; implicit-def: $vgpr41
                                        ; implicit-def: $vgpr35
                                        ; implicit-def: $vgpr31
                                        ; implicit-def: $vgpr36
                                        ; implicit-def: $vgpr33
                                        ; implicit-def: $vgpr34
                                        ; implicit-def: $vgpr22
                                        ; implicit-def: $vgpr40
                                        ; implicit-def: $vgpr0
                                        ; implicit-def: $vgpr42
                                        ; implicit-def: $vgpr25
                                        ; implicit-def: $vgpr43
                                        ; implicit-def: $vgpr17
                                        ; implicit-def: $vgpr44
                                        ; implicit-def: $vgpr23
                                        ; implicit-def: $vgpr45
                                        ; implicit-def: $vgpr28
                                        ; implicit-def: $vgpr46
                                        ; implicit-def: $vgpr1
                                        ; implicit-def: $vgpr47
                                        ; implicit-def: $vgpr21
                                        ; implicit-def: $vgpr48
                                        ; implicit-def: $vgpr13
                                        ; implicit-def: $vgpr49
                                        ; implicit-def: $vgpr18
                                        ; implicit-def: $vgpr50
                                        ; implicit-def: $vgpr19
                                        ; implicit-def: $vgpr51
                                        ; implicit-def: $vgpr6
                                        ; implicit-def: $vgpr30
                                        ; implicit-def: $vgpr37
                                        ; implicit-def: $vgpr32
                                        ; implicit-def: $vgpr38
                                        ; implicit-def: $vgpr3
                                        ; implicit-def: $vgpr29
                                        ; implicit-def: $vgpr26
                                        ; implicit-def: $vgpr24
                                        ; implicit-def: $vgpr27
                                        ; implicit-def: $vgpr2
                                        ; implicit-def: $vgpr10
                                        ; implicit-def: $vgpr20
                                        ; implicit-def: $vgpr12
                                        ; implicit-def: $vgpr16
                                        ; implicit-def: $vgpr7
	s_xor_b64 exec, exec, s[2:3]
	s_cbranch_execz .LBB0_15
; %bb.12:
	v_mad_u64_u32 v[0:1], s[0:1], s8, v8, 0
	v_mov_b32_e32 v2, v1
	v_mad_u64_u32 v[2:3], s[0:1], s9, v8, v[2:3]
	v_mov_b32_e32 v1, v2
	v_lshl_add_u64 v[0:1], v[0:1], 2, v[4:5]
	v_add_u32_e32 v3, 0xe1, v8
	global_load_dword v6, v[0:1], off
	v_mad_u64_u32 v[0:1], s[0:1], s8, v3, 0
	v_mov_b32_e32 v2, v1
	v_mad_u64_u32 v[2:3], s[0:1], s9, v3, v[2:3]
	v_add_u32_e32 v7, 0x1c2, v8
	v_mov_b32_e32 v1, v2
	v_mad_u64_u32 v[2:3], s[0:1], s8, v7, 0
	v_mov_b32_e32 v10, v3
	v_mad_u64_u32 v[10:11], s[0:1], s9, v7, v[10:11]
	v_add_u32_e32 v7, 0x2a3, v8
	v_mov_b32_e32 v3, v10
	v_mad_u64_u32 v[10:11], s[0:1], s8, v7, 0
	v_mov_b32_e32 v12, v11
	v_mad_u64_u32 v[12:13], s[0:1], s9, v7, v[12:13]
	v_mov_b32_e32 v11, v12
	v_add_u32_e32 v7, 0x384, v8
	v_lshl_add_u64 v[14:15], v[10:11], 2, v[4:5]
	v_mad_u64_u32 v[10:11], s[0:1], s8, v7, 0
	v_mov_b32_e32 v12, v11
	v_mad_u64_u32 v[12:13], s[0:1], s9, v7, v[12:13]
	v_mov_b32_e32 v11, v12
	v_add_u32_e32 v7, 0x465, v8
	v_lshl_add_u64 v[20:21], v[10:11], 2, v[4:5]
	;; [unrolled: 6-line block ×6, first 2 shown]
	v_mad_u64_u32 v[10:11], s[0:1], s8, v7, 0
	v_mov_b32_e32 v12, v11
	v_mad_u64_u32 v[12:13], s[0:1], s9, v7, v[12:13]
	v_lshl_add_u64 v[0:1], v[0:1], 2, v[4:5]
	v_mov_b32_e32 v11, v12
	v_add_u32_e32 v9, 0x5a, v8
	v_lshl_add_u64 v[2:3], v[2:3], 2, v[4:5]
	v_lshl_add_u64 v[30:31], v[10:11], 2, v[4:5]
	global_load_dword v10, v[26:27], off
	global_load_dword v13, v[24:25], off
	;; [unrolled: 1-line block ×7, first 2 shown]
	v_mad_u64_u32 v[0:1], s[0:1], s8, v9, 0
	v_mov_b32_e32 v2, v1
	v_mad_u64_u32 v[2:3], s[0:1], s9, v9, v[2:3]
	v_mov_b32_e32 v1, v2
	v_lshl_add_u64 v[2:3], v[0:1], 2, v[4:5]
	global_load_dword v21, v[28:29], off
	global_load_dword v20, v[30:31], off
	global_load_dword v1, v[2:3], off
	v_add_u32_e32 v11, 0x13b, v8
	v_mad_u64_u32 v[2:3], s[0:1], s8, v11, 0
	v_mov_b32_e32 v0, v3
	s_waitcnt vmcnt(0)
	v_mad_u64_u32 v[14:15], s[0:1], s9, v11, v[0:1]
	v_mov_b32_e32 v3, v14
	v_add_u32_e32 v11, 0x21c, v8
	v_lshl_add_u64 v[14:15], v[2:3], 2, v[4:5]
	v_mad_u64_u32 v[2:3], s[0:1], s8, v11, 0
	v_mov_b32_e32 v0, v3
	v_mad_u64_u32 v[22:23], s[0:1], s9, v11, v[0:1]
	v_mov_b32_e32 v3, v22
	v_add_u32_e32 v11, 0x2fd, v8
	v_lshl_add_u64 v[30:31], v[2:3], 2, v[4:5]
	v_mad_u64_u32 v[2:3], s[0:1], s8, v11, 0
	v_mov_b32_e32 v0, v3
	v_mad_u64_u32 v[22:23], s[0:1], s9, v11, v[0:1]
	v_mov_b32_e32 v3, v22
	v_add_u32_e32 v11, 0x3de, v8
	v_lshl_add_u64 v[32:33], v[2:3], 2, v[4:5]
	v_mad_u64_u32 v[2:3], s[0:1], s8, v11, 0
	v_mov_b32_e32 v0, v3
	v_mad_u64_u32 v[22:23], s[0:1], s9, v11, v[0:1]
	v_mov_b32_e32 v3, v22
	v_add_u32_e32 v11, 0x4bf, v8
	v_lshl_add_u64 v[34:35], v[2:3], 2, v[4:5]
	v_mad_u64_u32 v[2:3], s[0:1], s8, v11, 0
	v_mov_b32_e32 v0, v3
	v_mad_u64_u32 v[22:23], s[0:1], s9, v11, v[0:1]
	v_mov_b32_e32 v3, v22
	v_add_u32_e32 v11, 0x5a0, v8
	v_lshl_add_u64 v[36:37], v[2:3], 2, v[4:5]
	v_mad_u64_u32 v[2:3], s[0:1], s8, v11, 0
	v_mov_b32_e32 v0, v3
	v_mad_u64_u32 v[22:23], s[0:1], s9, v11, v[0:1]
	v_mov_b32_e32 v3, v22
	v_lshl_add_u64 v[2:3], v[2:3], 2, v[4:5]
	v_add_u32_e32 v11, 0x681, v8
	global_load_dword v17, v[2:3], off
	v_mad_u64_u32 v[2:3], s[0:1], s8, v11, 0
	v_mov_b32_e32 v0, v3
	v_mad_u64_u32 v[22:23], s[0:1], s9, v11, v[0:1]
	v_mov_b32_e32 v3, v22
	v_add_u32_e32 v11, 0x762, v8
	v_lshl_add_u64 v[38:39], v[2:3], 2, v[4:5]
	v_mad_u64_u32 v[2:3], s[0:1], s8, v11, 0
	v_mov_b32_e32 v0, v3
	v_mad_u64_u32 v[22:23], s[0:1], s9, v11, v[0:1]
	v_mov_b32_e32 v3, v22
	v_add_u32_e32 v11, 0x843, v8
	v_lshl_add_u64 v[40:41], v[2:3], 2, v[4:5]
	v_mad_u64_u32 v[2:3], s[0:1], s8, v11, 0
	v_mov_b32_e32 v0, v3
	v_mad_u64_u32 v[22:23], s[0:1], s9, v11, v[0:1]
	v_mov_b32_e32 v3, v22
	v_lshl_add_u64 v[42:43], v[2:3], 2, v[4:5]
	global_load_dword v24, v[36:37], off
	global_load_dword v23, v[34:35], off
	;; [unrolled: 1-line block ×8, first 2 shown]
	v_cmp_gt_u32_e64 s[0:1], 45, v8
                                        ; implicit-def: $vgpr3
                                        ; implicit-def: $vgpr38
                                        ; implicit-def: $vgpr32
                                        ; implicit-def: $vgpr37
                                        ; implicit-def: $vgpr30
                                        ; implicit-def: $vgpr0
                                        ; implicit-def: $vgpr40
                                        ; implicit-def: $vgpr22
                                        ; implicit-def: $vgpr34
                                        ; implicit-def: $vgpr33
                                        ; implicit-def: $vgpr36
                                        ; implicit-def: $vgpr31
                                        ; implicit-def: $vgpr35
                                        ; implicit-def: $vgpr41
                                        ; implicit-def: $vgpr39
	s_and_saveexec_b64 s[6:7], s[0:1]
	s_cbranch_execz .LBB0_14
; %bb.13:
	v_add_u32_e32 v3, 0xb4, v8
	v_mad_u64_u32 v[14:15], s[0:1], s8, v3, 0
	v_mov_b32_e32 v0, v15
	v_mad_u64_u32 v[30:31], s[0:1], s9, v3, v[0:1]
	v_mov_b32_e32 v15, v30
	v_lshl_add_u64 v[14:15], v[14:15], 2, v[4:5]
	v_add_u32_e32 v3, 0x195, v8
	global_load_dword v0, v[14:15], off
	v_mad_u64_u32 v[14:15], s[0:1], s8, v3, 0
	v_mov_b32_e32 v22, v15
	s_waitcnt vmcnt(7)
	v_mad_u64_u32 v[30:31], s[0:1], s9, v3, v[22:23]
	v_add_u32_e32 v3, 0x276, v8
	v_mov_b32_e32 v15, v30
	v_mad_u64_u32 v[30:31], s[0:1], s8, v3, 0
	v_mov_b32_e32 v22, v31
	v_mad_u64_u32 v[32:33], s[0:1], s9, v3, v[22:23]
	v_mov_b32_e32 v31, v32
	v_lshl_add_u64 v[30:31], v[30:31], 2, v[4:5]
	v_add_u32_e32 v3, 0x357, v8
	global_load_dword v22, v[30:31], off
	v_mad_u64_u32 v[30:31], s[0:1], s8, v3, 0
	v_mov_b32_e32 v32, v31
	v_mad_u64_u32 v[32:33], s[0:1], s9, v3, v[32:33]
	v_mov_b32_e32 v31, v32
	v_add_u32_e32 v3, 0x438, v8
	v_lshl_add_u64 v[34:35], v[30:31], 2, v[4:5]
	v_mad_u64_u32 v[30:31], s[0:1], s8, v3, 0
	v_mov_b32_e32 v32, v31
	v_mad_u64_u32 v[32:33], s[0:1], s9, v3, v[32:33]
	v_mov_b32_e32 v31, v32
	v_add_u32_e32 v3, 0x519, v8
	v_lshl_add_u64 v[42:43], v[30:31], 2, v[4:5]
	;; [unrolled: 6-line block ×6, first 2 shown]
	v_mad_u64_u32 v[30:31], s[0:1], s8, v3, 0
	v_mov_b32_e32 v32, v31
	v_mad_u64_u32 v[32:33], s[0:1], s9, v3, v[32:33]
	v_mov_b32_e32 v31, v32
	v_lshl_add_u64 v[14:15], v[14:15], 2, v[4:5]
	v_lshl_add_u64 v[52:53], v[30:31], 2, v[4:5]
	global_load_dword v30, v[48:49], off
	global_load_dword v31, v[46:47], off
	;; [unrolled: 1-line block ×8, first 2 shown]
	s_waitcnt vmcnt(9)
	v_lshrrev_b32_e32 v40, 16, v0
	s_waitcnt vmcnt(8)
	v_lshrrev_b32_e32 v34, 16, v22
	s_waitcnt vmcnt(6)
	v_lshrrev_b32_e32 v35, 16, v31
	s_waitcnt vmcnt(4)
	v_lshrrev_b32_e32 v36, 16, v33
	s_waitcnt vmcnt(1)
	v_lshrrev_b32_e32 v39, 16, v41
.LBB0_14:
	s_or_b64 exec, exec, s[6:7]
	v_lshrrev_b32_e32 v51, 16, v6
	v_lshrrev_b32_e32 v50, 16, v19
	;; [unrolled: 1-line block ×6, first 2 shown]
	s_waitcnt vmcnt(4)
	v_lshrrev_b32_e32 v45, 16, v28
	v_lshrrev_b32_e32 v44, 16, v23
	;; [unrolled: 1-line block ×3, first 2 shown]
	s_waitcnt vmcnt(1)
	v_lshrrev_b32_e32 v42, 16, v25
.LBB0_15:
	s_or_b64 exec, exec, s[2:3]
	v_add_f16_e32 v14, v13, v18
	v_fma_f16 v14, v14, -0.5, v6
	v_sub_f16_e32 v15, v50, v47
	s_movk_i32 s6, 0x3b9c
	s_mov_b32 s11, 0xbb9c
	v_fma_f16 v52, v15, s6, v14
	v_sub_f16_e32 v53, v49, v48
	s_movk_i32 s7, 0x38b4
	v_sub_f16_e32 v54, v19, v18
	v_sub_f16_e32 v55, v21, v13
	v_fma_f16 v14, v15, s11, v14
	s_mov_b32 s12, 0xb8b4
	v_fma_f16 v52, v53, s7, v52
	v_add_f16_e32 v54, v55, v54
	s_movk_i32 s10, 0x34f2
	v_fma_f16 v14, v53, s12, v14
	v_fma_f16 v52, v54, s10, v52
	;; [unrolled: 1-line block ×3, first 2 shown]
	v_add_f16_e32 v54, v21, v19
	v_add_f16_e32 v11, v19, v6
	v_fma_f16 v6, v54, -0.5, v6
	v_fma_f16 v54, v53, s11, v6
	v_sub_f16_e32 v55, v18, v19
	v_sub_f16_e32 v56, v13, v21
	v_fma_f16 v6, v53, s6, v6
	v_pk_add_f16 v57, v16, v12 neg_lo:[0,1] neg_hi:[0,1]
	v_pk_add_f16 v59, v20, v10 neg_lo:[0,1] neg_hi:[0,1]
	v_fma_f16 v54, v15, s7, v54
	v_add_f16_e32 v55, v56, v55
	v_fma_f16 v6, v15, s12, v6
	v_add_f16_e32 v53, v10, v12
	v_pk_add_f16 v58, v16, v20 neg_lo:[0,1] neg_hi:[0,1]
	v_pk_add_f16 v60, v12, v10 neg_lo:[0,1] neg_hi:[0,1]
	v_pk_add_f16 v57, v59, v57
	s_mov_b32 s0, 0xffff
	v_fma_f16 v54, v55, s10, v54
	v_fma_f16 v6, v55, s10, v6
	v_fma_f16 v53, v53, -0.5, v7
	v_lshrrev_b32_e32 v55, 16, v58
	v_bfi_b32 v57, s0, v57, v60
	s_mov_b32 s1, 0x38b434f2
	v_fma_f16 v56, v55, s6, v53
	v_pk_mul_f16 v57, v57, s1
	v_fma_f16 v53, v55, s11, v53
	v_add_f16_sdwa v56, v57, v56 dst_sel:DWORD dst_unused:UNUSED_PAD src0_sel:WORD_1 src1_sel:DWORD
	v_sub_f16_sdwa v53, v53, v57 dst_sel:DWORD dst_unused:UNUSED_PAD src0_sel:DWORD src1_sel:WORD_1
	v_add_f16_e32 v56, v57, v56
	v_add_f16_e32 v55, v57, v53
	v_lshrrev_b32_e32 v59, 16, v7
	v_add_f16_sdwa v57, v10, v12 dst_sel:DWORD dst_unused:UNUSED_PAD src0_sel:WORD_1 src1_sel:WORD_1
	v_fma_f16 v57, v57, -0.5, v59
	v_sub_f16_sdwa v62, v16, v12 dst_sel:DWORD dst_unused:UNUSED_PAD src0_sel:WORD_1 src1_sel:WORD_1
	v_sub_f16_sdwa v64, v20, v10 dst_sel:DWORD dst_unused:UNUSED_PAD src0_sel:WORD_1 src1_sel:WORD_1
	v_pk_add_f16 v53, v20, v16
	v_add_f16_e32 v64, v64, v62
	v_fma_f16 v62, v58, s11, v57
	v_fma_f16 v57, v58, s6, v57
	v_add_f16_e32 v15, v16, v7
	v_pk_add_f16 v61, v12, v16 neg_lo:[0,1] neg_hi:[0,1]
	v_pk_add_f16 v63, v10, v20 neg_lo:[0,1] neg_hi:[0,1]
	v_fma_f16 v62, v60, s12, v62
	v_fma_f16 v57, v60, s7, v57
	v_pk_fma_f16 v7, v53, 0.5, v7 op_sel_hi:[1,0,1] neg_lo:[1,0,0] neg_hi:[1,0,0]
	v_pk_mul_f16 v60, v60, s6 op_sel_hi:[1,0]
	v_pk_add_f16 v61, v63, v61
	v_pk_add_f16 v63, v60, v7 op_sel:[1,0] op_sel_hi:[0,1]
	v_pk_mul_f16 v58, v58, s7 op_sel_hi:[1,0]
	v_pk_add_f16 v7, v7, v60 op_sel:[0,1] op_sel_hi:[1,0] neg_lo:[0,1] neg_hi:[0,1]
	v_add_f16_e32 v11, v18, v11
	v_add_f16_e32 v15, v12, v15
	v_pk_add_f16 v63, v63, v58 op_sel:[0,1] op_sel_hi:[1,0] neg_lo:[0,1] neg_hi:[0,1]
	v_pk_add_f16 v7, v58, v7 op_sel:[1,0] op_sel_hi:[0,1]
	v_add_f16_e32 v11, v13, v11
	v_add_f16_e32 v15, v10, v15
	v_pk_fma_f16 v66, v61, s10, v63 op_sel_hi:[1,0,1]
	v_pk_fma_f16 v67, v61, s10, v7 op_sel_hi:[1,0,1]
	v_add_f16_e32 v11, v21, v11
	v_add_f16_e32 v15, v20, v15
	v_mul_f16_e32 v7, 0x34f2, v67
	v_lshrrev_b32_e32 v58, 16, v66
	v_fma_f16 v62, v64, s10, v62
	v_fma_f16 v57, v64, s10, v57
	v_add_f16_e32 v64, v15, v11
	v_mul_f16_e32 v53, 0x3a79, v56
	v_fma_f16 v7, v58, s6, v7
	v_mul_f16_e32 v58, 0x34f2, v66
	v_lshrrev_b32_e32 v60, 16, v67
	v_sub_f16_e32 v11, v11, v15
	v_mul_f16_e32 v15, 0x3a79, v55
	v_fma_f16 v53, v62, s7, v53
	v_fma_f16 v58, v60, s6, -v58
	v_fma_f16 v15, v57, s7, -v15
	v_add_f16_e32 v60, v52, v53
	v_sub_f16_e32 v52, v52, v53
	v_add_f16_e32 v53, v54, v7
	v_sub_f16_e32 v7, v54, v7
	;; [unrolled: 2-line block ×4, first 2 shown]
	v_sub_f16_e32 v15, v28, v23
	v_sub_f16_e32 v61, v25, v17
	v_add_f16_e32 v15, v61, v15
	v_mul_u32_u24_e32 v61, 10, v8
	v_pack_b32_f16 v53, v53, v54
	v_pack_b32_f16 v60, v64, v60
	v_lshl_add_u32 v83, v61, 1, 0
	ds_write2_b32 v83, v60, v53 offset1:1
	v_sub_f16_e32 v53, v23, v28
	v_sub_f16_e32 v60, v17, v25
	v_add_f16_e32 v53, v60, v53
	v_add_f16_e32 v60, v25, v28
	v_fma_f16 v60, v60, -0.5, v1
	v_sub_f16_e32 v61, v44, v43
	v_pack_b32_f16 v7, v52, v7
	v_pack_b32_f16 v11, v58, v11
	v_sub_f16_e32 v54, v45, v42
	v_fma_f16 v63, v61, s11, v60
	v_fma_f16 v60, v61, s6, v60
	ds_write2_b32 v83, v11, v7 offset0:2 offset1:3
	v_sub_f16_sdwa v7, v27, v24 dst_sel:DWORD dst_unused:UNUSED_PAD src0_sel:WORD_1 src1_sel:WORD_1
	s_waitcnt vmcnt(0)
	v_sub_f16_sdwa v11, v26, v29 dst_sel:DWORD dst_unused:UNUSED_PAD src0_sel:WORD_1 src1_sel:WORD_1
	v_fma_f16 v63, v54, s7, v63
	v_fma_f16 v60, v54, s12, v60
	v_add_f16_e32 v7, v11, v7
	v_pk_add_f16 v11, v24, v27 neg_lo:[0,1] neg_hi:[0,1]
	v_pk_add_f16 v52, v29, v26 neg_lo:[0,1] neg_hi:[0,1]
	v_fma_f16 v63, v53, s10, v63
	v_fma_f16 v53, v53, s10, v60
	v_pk_add_f16 v60, v27, v24 neg_lo:[0,1] neg_hi:[0,1]
	v_pk_add_f16 v64, v26, v29 neg_lo:[0,1] neg_hi:[0,1]
	v_pk_add_f16 v11, v52, v11
	v_pk_add_f16 v52, v26, v27
	v_pk_add_f16 v58, v24, v29 neg_lo:[0,1] neg_hi:[0,1]
	v_pk_add_f16 v60, v64, v60
	v_pk_fma_f16 v52, v52, 0.5, v2 op_sel_hi:[1,0,1] neg_lo:[1,0,0] neg_hi:[1,0,0]
	v_pk_mul_f16 v64, v58, s6 op_sel_hi:[1,0]
	v_add_f16_e32 v69, v29, v24
	v_pk_add_f16 v65, v64, v52 op_sel:[1,0] op_sel_hi:[0,1]
	v_pk_add_f16 v52, v52, v64 op_sel:[0,1] op_sel_hi:[1,0] neg_lo:[0,1] neg_hi:[0,1]
	v_pk_add_f16 v64, v27, v26 neg_lo:[0,1] neg_hi:[0,1]
	v_pack_b32_f16 v6, v6, v14
	v_pk_mul_f16 v68, v64, s7 op_sel_hi:[1,0]
	v_fma_f16 v69, v69, -0.5, v2
	v_pk_add_f16 v65, v65, v68 op_sel:[0,1] op_sel_hi:[1,0] neg_lo:[0,1] neg_hi:[0,1]
	v_pk_add_f16 v52, v68, v52 op_sel:[1,0] op_sel_hi:[0,1]
	v_pk_fma_f16 v88, v11, s10, v65 op_sel_hi:[1,0,1]
	v_pk_fma_f16 v89, v11, s10, v52 op_sel_hi:[1,0,1]
	v_lshrrev_b32_e32 v52, 16, v88
	v_mul_f16_e32 v11, 0x34f2, v89
	v_fma_f16 v11, v52, s6, v11
	v_mul_f16_e32 v52, 0x34f2, v88
	v_lshrrev_b32_e32 v65, 16, v89
	v_fma_f16 v52, v65, s6, -v52
	v_bfi_b32 v60, s0, v60, v58
	v_lshrrev_b32_e32 v70, 16, v64
	ds_write_b32 v83, v6 offset:16
	v_add_f16_e32 v6, v63, v11
	v_add_f16_e32 v14, v53, v52
	;; [unrolled: 1-line block ×3, first 2 shown]
	v_pk_mul_f16 v60, v60, s1
	v_fma_f16 v71, v70, s6, v69
	v_lshrrev_b32_e32 v92, 16, v2
	v_add_f16_sdwa v2, v29, v24 dst_sel:DWORD dst_unused:UNUSED_PAD src0_sel:WORD_1 src1_sel:WORD_1
	v_pack_b32_f16 v6, v6, v14
	v_add_f16_e32 v14, v17, v23
	v_add_f16_sdwa v71, v60, v71 dst_sel:DWORD dst_unused:UNUSED_PAD src0_sel:WORD_1 src1_sel:DWORD
	v_fma_f16 v2, v2, -0.5, v92
	v_fma_f16 v14, v14, -0.5, v1
	v_add_f16_e32 v1, v28, v1
	v_add_f16_e32 v90, v60, v71
	v_fma_f16 v71, v64, s11, v2
	v_add_f16_e32 v1, v23, v1
	v_fma_f16 v65, v54, s6, v14
	;; [unrolled: 2-line block ×5, first 2 shown]
	v_mul_f16_e32 v71, 0x3a79, v90
	v_add_f16_e32 v1, v25, v1
	v_fma_f16 v65, v15, s10, v65
	v_add_f16_e32 v68, v26, v68
	v_fma_f16 v71, v91, s7, v71
	v_add_f16_e32 v72, v68, v1
	v_add_f16_e32 v73, v65, v71
	v_pack_b32_f16 v72, v72, v73
	v_mul_i32_i24_e32 v73, 10, v9
	v_lshl_add_u32 v87, v73, 1, 0
	ds_write2_b32 v87, v72, v6 offset1:1
	v_fma_f16 v6, v54, s11, v14
	v_fma_f16 v14, v70, s11, v69
	v_sub_f16_sdwa v14, v14, v60 dst_sel:DWORD dst_unused:UNUSED_PAD src0_sel:DWORD src1_sel:WORD_1
	v_fma_f16 v2, v64, s6, v2
	v_add_f16_e32 v94, v60, v14
	v_fma_f16 v2, v58, s7, v2
	v_fma_f16 v6, v61, s12, v6
	;; [unrolled: 1-line block ×3, first 2 shown]
	v_mul_f16_e32 v14, 0x3a79, v94
	v_fma_f16 v6, v15, s10, v6
	v_fma_f16 v14, v96, s7, -v14
	v_sub_f16_e32 v1, v1, v68
	v_sub_f16_e32 v2, v65, v71
	;; [unrolled: 1-line block ×3, first 2 shown]
	v_add_f16_e32 v15, v6, v14
	v_pack_b32_f16 v2, v2, v7
	v_pack_b32_f16 v1, v15, v1
	ds_write2_b32 v87, v1, v2 offset0:2 offset1:3
	v_sub_f16_e32 v1, v22, v33
	v_sub_f16_e32 v2, v41, v31
	v_add_f16_e32 v7, v2, v1
	v_add_f16_e32 v1, v31, v33
	v_fma_f16 v15, v1, -0.5, v0
	v_sub_f16_e32 v2, v34, v39
	v_sub_f16_e32 v14, v6, v14
	v_fma_f16 v1, v2, s6, v15
	v_sub_f16_e32 v6, v36, v35
	v_fma_f16 v15, v2, s11, v15
	v_fma_f16 v1, v6, s7, v1
	;; [unrolled: 1-line block ×3, first 2 shown]
	v_sub_f16_e32 v11, v53, v52
	v_fma_f16 v1, v7, s10, v1
	v_fma_f16 v7, v7, s10, v15
	v_pk_add_f16 v15, v38, v32 neg_lo:[0,1] neg_hi:[0,1]
	v_pk_add_f16 v52, v37, v30 neg_lo:[0,1] neg_hi:[0,1]
	;; [unrolled: 1-line block ×3, first 2 shown]
	v_pk_add_f16 v15, v52, v15
	v_add_f16_e32 v52, v30, v32
	v_fma_f16 v52, v52, -0.5, v3
	v_lshrrev_b32_e32 v54, 16, v53
	v_fma_f16 v58, v54, s6, v52
	v_fma_f16 v52, v54, s11, v52
	v_pk_add_f16 v54, v32, v30 neg_lo:[0,1] neg_hi:[0,1]
	v_lshrrev_b32_e32 v99, 16, v3
	v_bfi_b32 v15, s0, v15, v54
	v_pk_mul_f16 v15, v15, s1
	v_pack_b32_f16 v11, v11, v14
	v_add_f16_sdwa v58, v15, v58 dst_sel:DWORD dst_unused:UNUSED_PAD src0_sel:WORD_1 src1_sel:DWORD
	v_sub_f16_sdwa v52, v52, v15 dst_sel:DWORD dst_unused:UNUSED_PAD src0_sel:DWORD src1_sel:WORD_1
	v_add_f16_e32 v95, v15, v58
	v_add_f16_e32 v93, v15, v52
	v_sub_f16_sdwa v15, v38, v32 dst_sel:DWORD dst_unused:UNUSED_PAD src0_sel:WORD_1 src1_sel:WORD_1
	v_sub_f16_sdwa v52, v37, v30 dst_sel:DWORD dst_unused:UNUSED_PAD src0_sel:WORD_1 src1_sel:WORD_1
	v_add_f16_e32 v15, v52, v15
	v_add_f16_sdwa v52, v30, v32 dst_sel:DWORD dst_unused:UNUSED_PAD src0_sel:WORD_1 src1_sel:WORD_1
	v_fma_f16 v52, v52, -0.5, v99
	v_fma_f16 v58, v53, s11, v52
	v_fma_f16 v52, v53, s6, v52
	;; [unrolled: 1-line block ×6, first 2 shown]
	v_pk_add_f16 v15, v32, v38 neg_lo:[0,1] neg_hi:[0,1]
	v_pk_add_f16 v52, v30, v37 neg_lo:[0,1] neg_hi:[0,1]
	v_pk_mul_f16 v54, v54, s6 op_sel_hi:[1,0]
	v_pk_add_f16 v15, v52, v15
	v_pk_add_f16 v52, v37, v38
	v_pk_mul_f16 v53, v53, s7 op_sel_hi:[1,0]
	v_pk_fma_f16 v52, v52, 0.5, v3 op_sel_hi:[1,0,1] neg_lo:[1,0,0] neg_hi:[1,0,0]
	ds_write_b32 v87, v11 offset:16
	v_pk_add_f16 v58, v54, v52 op_sel:[1,0] op_sel_hi:[0,1]
	v_pk_add_f16 v52, v52, v54 op_sel:[0,1] op_sel_hi:[1,0] neg_lo:[0,1] neg_hi:[0,1]
	v_add_f16_e32 v11, v22, v0
	v_add_f16_e32 v3, v38, v3
	v_pk_add_f16 v54, v58, v53 op_sel:[0,1] op_sel_hi:[1,0] neg_lo:[0,1] neg_hi:[0,1]
	v_pk_add_f16 v52, v53, v52 op_sel:[1,0] op_sel_hi:[0,1]
	v_add_f16_e32 v11, v33, v11
	v_add_f16_e32 v3, v32, v3
	v_pk_fma_f16 v100, v15, s10, v54 op_sel_hi:[1,0,1]
	v_pk_fma_f16 v101, v15, s10, v52 op_sel_hi:[1,0,1]
	v_add_f16_e32 v11, v31, v11
	v_add_f16_e32 v3, v30, v3
	v_mul_f16_e32 v14, 0x3a79, v95
	v_mul_f16_e32 v15, 0x3a79, v93
	v_add_f16_e32 v11, v41, v11
	v_add_f16_e32 v3, v37, v3
	v_fma_f16 v14, v98, s7, v14
	v_fma_f16 v15, v97, s7, -v15
	v_cmp_gt_u32_e64 s[2:3], 45, v8
	v_add_f16_e32 v52, v7, v15
	v_sub_f16_e32 v54, v11, v3
	v_sub_f16_e32 v53, v1, v14
	s_and_saveexec_b64 s[0:1], s[2:3]
	s_cbranch_execz .LBB0_17
; %bb.16:
	v_sub_f16_e32 v7, v7, v15
	v_sub_f16_e32 v15, v33, v22
	;; [unrolled: 1-line block ×3, first 2 shown]
	v_add_f16_e32 v15, v58, v15
	v_add_f16_e32 v58, v41, v22
	v_fma_f16 v0, v58, -0.5, v0
	v_fma_f16 v58, v6, s6, v0
	v_fma_f16 v0, v6, s11, v0
	v_fma_f16 v58, v2, s12, v58
	v_lshrrev_b32_e32 v60, 16, v101
	v_mul_f16_e32 v61, 0x34f2, v100
	v_fma_f16 v0, v2, s7, v0
	v_mul_f16_e32 v2, 0x34f2, v101
	v_lshrrev_b32_e32 v6, 16, v100
	v_fma_f16 v58, v15, s10, v58
	v_fma_f16 v60, v60, s6, -v61
	v_fma_f16 v0, v15, s10, v0
	v_fma_f16 v2, v6, s6, v2
	v_sub_f16_e32 v6, v0, v2
	v_add_f16_e32 v15, v58, v60
	v_add_f16_e32 v0, v0, v2
	;; [unrolled: 1-line block ×4, first 2 shown]
	v_add_u32_e32 v3, 0xe10, v83
	v_pack_b32_f16 v0, v0, v15
	v_pack_b32_f16 v1, v2, v1
	s_mov_b32 s6, 0x5040100
	v_sub_f16_e32 v61, v58, v60
	ds_write2_b32 v3, v1, v0 offset1:1
	v_add_u32_e32 v0, 0xe18, v83
	v_perm_b32 v1, v6, v53, s6
	v_perm_b32 v2, v54, v52, s6
	ds_write2_b32 v0, v2, v1 offset1:1
	v_pack_b32_f16 v0, v61, v7
	ds_write_b32 v83, v0 offset:3616
.LBB0_17:
	s_or_b64 exec, exec, s[0:1]
	s_movk_i32 s0, 0xffee
	v_mad_i32_i24 v11, v8, s0, v83
	s_waitcnt lgkmcnt(0)
	s_barrier
	ds_read_u16 v65, v11
	ds_read_u16 v58, v11 offset:360
	ds_read_u16 v79, v11 offset:1680
	;; [unrolled: 1-line block ×7, first 2 shown]
	v_add_u32_e32 v7, 0x1c2, v8
	v_mad_i32_i24 v61, v9, s0, v87
	v_add_u32_e32 v2, 0x168, v8
	v_lshl_add_u32 v15, v7, 1, 0
	v_add_u32_e32 v3, 0x276, v8
	v_add_u32_e32 v6, 0x21c, v8
	v_lshl_add_u32 v14, v2, 1, 0
	ds_read_u16 v84, v11 offset:3180
	ds_read_u16 v82, v11 offset:3360
	;; [unrolled: 1-line block ×4, first 2 shown]
	v_lshl_add_u32 v0, v6, 1, 0
	ds_read_u16 v64, v15
	ds_read_u16 v60, v0
	ds_read_u16 v80, v11 offset:2400
	ds_read_u16 v74, v11 offset:2580
	ds_read_u16 v78, v11 offset:3900
	ds_read_u16 v72, v11 offset:4080
	v_lshl_add_u32 v1, v3, 1, 0
	ds_read_u16 v69, v61
	ds_read_u16 v61, v1
	ds_read_u16 v86, v11 offset:3000
	ds_read_u16 v73, v11 offset:2760
	ds_read_u16 v68, v14
	ds_read_u16 v70, v11 offset:4260
	v_cmp_gt_u32_e64 s[0:1], 30, v8
	s_and_saveexec_b64 s[6:7], s[0:1]
	s_cbranch_execz .LBB0_19
; %bb.18:
	ds_read_u16 v52, v11 offset:1440
	ds_read_u16 v54, v11 offset:2940
	;; [unrolled: 1-line block ×3, first 2 shown]
.LBB0_19:
	s_or_b64 exec, exec, s[6:7]
	v_add_f16_e32 v104, v48, v49
	v_fma_f16 v104, v104, -0.5, v51
	v_sub_f16_e32 v19, v19, v21
	s_mov_b32 s6, 0xbb9c
	v_fma_f16 v21, v19, s6, v104
	v_sub_f16_e32 v13, v18, v13
	s_mov_b32 s7, 0xb8b4
	s_movk_i32 s11, 0x3b9c
	v_fma_f16 v18, v13, s7, v21
	v_sub_f16_e32 v21, v50, v49
	v_sub_f16_e32 v105, v47, v48
	v_fma_f16 v104, v19, s11, v104
	s_movk_i32 s12, 0x38b4
	v_add_f16_e32 v103, v50, v51
	v_add_f16_e32 v21, v105, v21
	v_fma_f16 v104, v13, s12, v104
	v_add_f16_e32 v103, v49, v103
	v_fma_f16 v18, v21, s10, v18
	v_fma_f16 v21, v21, s10, v104
	v_add_f16_e32 v104, v47, v50
	v_add_f16_e32 v103, v48, v103
	v_fma_f16 v51, v104, -0.5, v51
	v_add_f16_e32 v103, v47, v103
	v_fma_f16 v104, v13, s11, v51
	v_sub_f16_e32 v49, v49, v50
	v_sub_f16_e32 v47, v48, v47
	v_fma_f16 v13, v13, s6, v51
	v_add_f16_sdwa v16, v16, v59 dst_sel:DWORD dst_unused:UNUSED_PAD src0_sel:WORD_1 src1_sel:DWORD
	v_fma_f16 v104, v19, s7, v104
	v_add_f16_e32 v47, v47, v49
	v_fma_f16 v13, v19, s12, v13
	v_add_f16_sdwa v12, v12, v16 dst_sel:DWORD dst_unused:UNUSED_PAD src0_sel:WORD_1 src1_sel:DWORD
	s_mov_b32 s15, 0x34f23b9c
	v_mul_f16_e32 v47, 0x34f2, v47
	v_add_f16_sdwa v10, v10, v12 dst_sel:DWORD dst_unused:UNUSED_PAD src0_sel:WORD_1 src1_sel:DWORD
	v_mul_f16_e32 v12, 0xb8b4, v56
	s_movk_i32 s13, 0x3a79
	v_pack_b32_f16 v13, v13, v104
	s_mov_b32 s14, 0x34f2bb9c
	v_pk_mul_f16 v16, v67, s15
	v_add_f16_sdwa v10, v20, v10 dst_sel:DWORD dst_unused:UNUSED_PAD src0_sel:WORD_1 src1_sel:DWORD
	v_fma_f16 v12, v62, s13, v12
	v_pk_add_f16 v13, v47, v13 op_sel_hi:[0,1]
	v_pk_fma_f16 v16, v66, s14, v16 op_sel:[0,0,1] op_sel_hi:[1,1,0] neg_lo:[0,0,1] neg_hi:[0,0,1]
	s_mov_b32 s16, 0xffff
	v_add_f16_e32 v48, v10, v103
	v_add_f16_e32 v49, v18, v12
	v_mul_f16_e32 v19, 0x3a79, v57
	v_sub_f16_e32 v51, v103, v10
	v_bfi_b32 v10, s16, v18, v13
	v_bfi_b32 v12, s16, v12, v16
	v_fma_f16 v19, v55, s7, -v19
	v_pk_add_f16 v55, v10, v12 neg_lo:[0,1] neg_hi:[0,1]
	v_add_f16_e32 v12, v43, v44
	v_pk_add_f16 v47, v13, v16
	v_sub_f16_e32 v56, v13, v16
	v_fma_f16 v12, v12, -0.5, v46
	v_sub_f16_e32 v13, v28, v25
	v_add_f16_e32 v50, v21, v19
	v_sub_f16_e32 v57, v21, v19
	v_fma_f16 v16, v13, s6, v12
	v_sub_f16_e32 v17, v23, v17
	v_sub_f16_e32 v18, v45, v44
	;; [unrolled: 1-line block ×3, first 2 shown]
	v_fma_f16 v12, v13, s11, v12
	v_fma_f16 v16, v17, s7, v16
	v_add_f16_e32 v18, v19, v18
	v_fma_f16 v12, v17, s12, v12
	v_fma_f16 v16, v18, s10, v16
	v_fma_f16 v12, v18, s10, v12
	v_add_f16_e32 v18, v42, v45
	v_fma_f16 v18, v18, -0.5, v46
	v_fma_f16 v19, v17, s11, v18
	v_fma_f16 v17, v17, s6, v18
	v_add_f16_e32 v10, v45, v46
	v_fma_f16 v19, v13, s7, v19
	v_sub_f16_e32 v20, v44, v45
	v_sub_f16_e32 v21, v43, v42
	v_fma_f16 v13, v13, s12, v17
	v_add_f16_sdwa v17, v27, v92 dst_sel:DWORD dst_unused:UNUSED_PAD src0_sel:WORD_1 src1_sel:DWORD
	v_add_f16_e32 v10, v44, v10
	v_add_f16_e32 v20, v21, v20
	v_add_f16_sdwa v17, v24, v17 dst_sel:DWORD dst_unused:UNUSED_PAD src0_sel:WORD_1 src1_sel:DWORD
	v_add_f16_e32 v10, v43, v10
	v_mul_f16_e32 v20, 0x34f2, v20
	v_add_f16_sdwa v17, v29, v17 dst_sel:DWORD dst_unused:UNUSED_PAD src0_sel:WORD_1 src1_sel:DWORD
	v_mul_f16_e32 v18, 0xb8b4, v90
	v_pack_b32_f16 v13, v13, v19
	v_pk_mul_f16 v19, v89, s15
	v_add_f16_e32 v10, v42, v10
	v_add_f16_sdwa v17, v26, v17 dst_sel:DWORD dst_unused:UNUSED_PAD src0_sel:WORD_1 src1_sel:DWORD
	v_fma_f16 v18, v91, s13, v18
	v_pk_add_f16 v13, v20, v13 op_sel_hi:[0,1]
	v_pk_fma_f16 v19, v88, s14, v19 op_sel:[0,0,1] op_sel_hi:[1,1,0] neg_lo:[0,0,1] neg_hi:[0,0,1]
	v_add_f16_e32 v25, v17, v10
	v_add_f16_e32 v26, v16, v18
	v_sub_f16_e32 v29, v10, v17
	v_bfi_b32 v10, s16, v16, v13
	v_bfi_b32 v16, s16, v18, v19
	v_pk_add_f16 v42, v10, v16 neg_lo:[0,1] neg_hi:[0,1]
	v_add_f16_e32 v10, v34, v40
	v_mul_f16_e32 v20, 0x3a79, v96
	v_add_f16_e32 v10, v36, v10
	v_fma_f16 v20, v94, s7, -v20
	v_add_f16_e32 v10, v35, v10
	v_add_f16_e32 v28, v12, v20
	v_sub_f16_e32 v44, v12, v20
	v_add_f16_e32 v12, v39, v10
	v_add_f16_e32 v10, v35, v36
	v_fma_f16 v10, v10, -0.5, v40
	v_sub_f16_e32 v17, v22, v41
	v_pk_add_f16 v27, v13, v19
	v_sub_f16_e32 v43, v13, v19
	v_fma_f16 v13, v17, s6, v10
	v_sub_f16_e32 v18, v33, v31
	v_sub_f16_e32 v16, v34, v36
	;; [unrolled: 1-line block ×3, first 2 shown]
	v_fma_f16 v10, v17, s11, v10
	v_fma_f16 v13, v18, s7, v13
	v_add_f16_e32 v16, v19, v16
	v_fma_f16 v10, v18, s12, v10
	v_fma_f16 v13, v16, s10, v13
	;; [unrolled: 1-line block ×3, first 2 shown]
	v_add_f16_e32 v10, v39, v34
	v_fma_f16 v10, v10, -0.5, v40
	v_fma_f16 v19, v18, s11, v10
	v_fma_f16 v10, v18, s6, v10
	;; [unrolled: 1-line block ×3, first 2 shown]
	v_sub_f16_e32 v19, v36, v34
	v_sub_f16_e32 v20, v35, v39
	v_fma_f16 v10, v17, s12, v10
	v_add_f16_sdwa v17, v38, v99 dst_sel:DWORD dst_unused:UNUSED_PAD src0_sel:WORD_1 src1_sel:DWORD
	v_add_f16_e32 v19, v20, v19
	v_add_f16_sdwa v17, v32, v17 dst_sel:DWORD dst_unused:UNUSED_PAD src0_sel:WORD_1 src1_sel:DWORD
	v_mul_f16_e32 v22, 0x34f2, v19
	v_add_f16_sdwa v17, v30, v17 dst_sel:DWORD dst_unused:UNUSED_PAD src0_sel:WORD_1 src1_sel:DWORD
	v_pack_b32_f16 v10, v10, v21
	v_alignbit_b32 v30, v47, v47, 16
	v_pack_b32_f16 v31, v48, v49
	v_add_f16_sdwa v19, v37, v17 dst_sel:DWORD dst_unused:UNUSED_PAD src0_sel:WORD_1 src1_sel:DWORD
	v_mul_f16_e32 v17, 0xb8b4, v95
	v_pk_add_f16 v22, v22, v10 op_sel_hi:[0,1]
	v_pk_mul_f16 v10, v101, s15
	s_waitcnt lgkmcnt(0)
	s_barrier
	ds_write2_b32 v83, v31, v30 offset1:1
	v_pack_b32_f16 v30, v50, v51
	v_fma_f16 v20, v98, s13, v17
	v_pk_fma_f16 v23, v100, s14, v10 op_sel:[0,0,1] op_sel_hi:[1,1,0] neg_lo:[0,0,1] neg_hi:[0,0,1]
	v_mul_f16_e32 v10, 0x3a79, v97
	ds_write2_b32 v83, v30, v55 offset0:2 offset1:3
	v_pack_b32_f16 v30, v56, v57
	v_alignbit_b32 v27, v27, v27, 16
	v_pack_b32_f16 v25, v25, v26
	v_fma_f16 v24, v93, s7, -v10
	v_bfi_b32 v10, s16, v13, v22
	v_bfi_b32 v17, s16, v20, v23
	ds_write_b32 v83, v30 offset:16
	ds_write2_b32 v87, v25, v27 offset1:1
	v_pack_b32_f16 v25, v28, v29
	v_mul_i32_i24_e32 v102, 0xffffffee, v9
	v_add_f16_e32 v21, v16, v24
	v_sub_f16_e32 v18, v12, v19
	v_pk_add_f16 v17, v10, v17 neg_lo:[0,1] neg_hi:[0,1]
	v_add_u32_e32 v10, 0xb4, v8
	ds_write2_b32 v87, v25, v42 offset0:2 offset1:3
	v_pack_b32_f16 v25, v43, v44
	ds_write_b32 v87, v25 offset:16
	s_and_saveexec_b64 s[6:7], s[2:3]
	s_cbranch_execz .LBB0_21
; %bb.20:
	v_add_f16_e32 v12, v19, v12
	v_add_f16_e32 v13, v13, v20
	v_pk_add_f16 v19, v22, v23
	v_sub_f16_e32 v20, v22, v23
	v_mul_u32_u24_e32 v22, 10, v10
	v_lshl_add_u32 v22, v22, 1, 0
	v_pack_b32_f16 v12, v12, v13
	v_alignbit_b32 v13, v19, v19, 16
	s_mov_b32 s2, 0x5040100
	v_sub_f16_e32 v16, v16, v24
	ds_write2_b32 v22, v12, v13 offset1:1
	v_perm_b32 v12, v18, v21, s2
	ds_write2_b32 v22, v12, v17 offset0:2 offset1:3
	v_pack_b32_f16 v12, v20, v16
	ds_write_b32 v22, v12 offset:16
.LBB0_21:
	s_or_b64 exec, exec, s[6:7]
	s_waitcnt lgkmcnt(0)
	s_barrier
	v_add_u32_e32 v13, v87, v102
	ds_read_u16 v25, v11
	ds_read_u16 v23, v11 offset:360
	ds_read_u16 v39, v11 offset:1680
	;; [unrolled: 1-line block ×11, first 2 shown]
	ds_read_u16 v22, v15
	ds_read_u16 v20, v0
	ds_read_u16 v35, v11 offset:2400
	ds_read_u16 v31, v11 offset:2580
	;; [unrolled: 1-line block ×4, first 2 shown]
	ds_read_u16 v27, v13
	ds_read_u16 v19, v1
	ds_read_u16 v43, v11 offset:3000
	ds_read_u16 v29, v11 offset:2760
	ds_read_u16 v26, v14
	ds_read_u16 v28, v11 offset:4260
	s_and_saveexec_b64 s[2:3], s[0:1]
	s_cbranch_execz .LBB0_23
; %bb.22:
	ds_read_u16 v21, v11 offset:1440
	ds_read_u16 v18, v11 offset:2940
	ds_read_u16 v17, v11 offset:4440
.LBB0_23:
	s_or_b64 exec, exec, s[2:3]
	s_movk_i32 s2, 0xcd
	v_mul_lo_u16_sdwa v12, v8, s2 dst_sel:DWORD dst_unused:UNUSED_PAD src0_sel:BYTE_0 src1_sel:DWORD
	v_mul_lo_u16_sdwa v44, v9, s2 dst_sel:DWORD dst_unused:UNUSED_PAD src0_sel:BYTE_0 src1_sel:DWORD
	v_lshrrev_b16_e32 v87, 11, v12
	v_lshrrev_b16_e32 v98, 11, v44
	v_mul_lo_u16_e32 v12, 10, v87
	v_mul_lo_u16_e32 v44, 10, v98
	v_sub_u16_e32 v48, v8, v12
	v_mov_b32_e32 v12, 3
	v_sub_u16_e32 v49, v9, v44
	v_lshlrev_b32_sdwa v16, v12, v48 dst_sel:DWORD dst_unused:UNUSED_PAD src0_sel:DWORD src1_sel:BYTE_0
	v_lshlrev_b32_sdwa v12, v12, v49 dst_sel:DWORD dst_unused:UNUSED_PAD src0_sel:DWORD src1_sel:BYTE_0
	s_mov_b32 s2, 0xcccd
	global_load_dwordx2 v[44:45], v16, s[4:5]
	global_load_dwordx2 v[46:47], v12, s[4:5]
	v_mul_u32_u24_sdwa v16, v10, s2 dst_sel:DWORD dst_unused:UNUSED_PAD src0_sel:WORD_0 src1_sel:DWORD
	v_lshrrev_b32_e32 v99, 19, v16
	v_mul_lo_u16_e32 v12, 10, v99
	v_sub_u16_e32 v50, v10, v12
	v_lshlrev_b32_e32 v12, 3, v50
	global_load_dwordx2 v[56:57], v12, s[4:5]
	v_add_u32_e32 v12, 0x10e, v8
	v_mul_u32_u24_sdwa v16, v12, s2 dst_sel:DWORD dst_unused:UNUSED_PAD src0_sel:WORD_0 src1_sel:DWORD
	v_lshrrev_b32_e32 v100, 19, v16
	v_mul_lo_u16_e32 v16, 10, v100
	v_sub_u16_e32 v51, v12, v16
	v_lshlrev_b32_e32 v16, 3, v51
	global_load_dwordx2 v[66:67], v16, s[4:5]
	v_mul_u32_u24_sdwa v16, v2, s2 dst_sel:DWORD dst_unused:UNUSED_PAD src0_sel:WORD_0 src1_sel:DWORD
	v_lshrrev_b32_e32 v101, 19, v16
	v_mul_lo_u16_e32 v16, 10, v101
	v_sub_u16_e32 v62, v2, v16
	v_lshlrev_b32_e32 v16, 3, v62
	global_load_dwordx2 v[88:89], v16, s[4:5]
	;; [unrolled: 6-line block ×5, first 2 shown]
	v_add_u32_e32 v16, 0x2d0, v8
	v_mul_u32_u24_sdwa v55, v16, s2 dst_sel:DWORD dst_unused:UNUSED_PAD src0_sel:WORD_0 src1_sel:DWORD
	v_lshrrev_b32_e32 v108, 19, v55
	v_mul_lo_u16_e32 v55, 10, v108
	v_sub_u16_e32 v109, v16, v55
	v_lshlrev_b32_e32 v55, 3, v109
	global_load_dwordx2 v[96:97], v55, s[4:5]
	v_mov_b32_e32 v55, 1
	v_lshlrev_b32_sdwa v110, v55, v48 dst_sel:DWORD dst_unused:UNUSED_PAD src0_sel:DWORD src1_sel:BYTE_0
	v_lshlrev_b32_sdwa v111, v55, v49 dst_sel:DWORD dst_unused:UNUSED_PAD src0_sel:DWORD src1_sel:BYTE_0
	v_lshlrev_b32_e32 v112, 1, v50
	v_lshlrev_b32_e32 v113, 1, v51
	s_movk_i32 s6, 0x3aee
	s_mov_b32 s7, 0xbaee
	s_mov_b32 s2, 0x5040100
	s_waitcnt lgkmcnt(0)
	s_barrier
	s_waitcnt vmcnt(8)
	v_mul_f16_sdwa v49, v85, v44 dst_sel:DWORD dst_unused:UNUSED_PAD src0_sel:DWORD src1_sel:WORD_1
	v_mul_f16_sdwa v55, v86, v45 dst_sel:DWORD dst_unused:UNUSED_PAD src0_sel:DWORD src1_sel:WORD_1
	s_waitcnt vmcnt(7)
	v_mul_f16_sdwa v114, v39, v46 dst_sel:DWORD dst_unused:UNUSED_PAD src0_sel:DWORD src1_sel:WORD_1
	v_mul_f16_sdwa v115, v79, v46 dst_sel:DWORD dst_unused:UNUSED_PAD src0_sel:DWORD src1_sel:WORD_1
	;; [unrolled: 1-line block ×5, first 2 shown]
	s_waitcnt vmcnt(6)
	v_mul_f16_sdwa v121, v82, v57 dst_sel:DWORD dst_unused:UNUSED_PAD src0_sel:DWORD src1_sel:WORD_1
	v_mul_f16_sdwa v50, v43, v45 dst_sel:DWORD dst_unused:UNUSED_PAD src0_sel:DWORD src1_sel:WORD_1
	;; [unrolled: 1-line block ×4, first 2 shown]
	v_fma_f16 v59, v42, v44, v49
	v_fma_f16 v83, v43, v45, v55
	v_fma_f16 v43, v79, v46, -v114
	v_fma_f16 v49, v39, v46, v115
	v_fma_f16 v46, v84, v47, -v116
	v_fma_f16 v55, v41, v47, v117
	v_fma_f16 v47, v40, v57, v121
	s_waitcnt vmcnt(5)
	v_mul_f16_sdwa v40, v75, v66 dst_sel:DWORD dst_unused:UNUSED_PAD src0_sel:DWORD src1_sel:WORD_1
	v_mul_f16_sdwa v118, v37, v56 dst_sel:DWORD dst_unused:UNUSED_PAD src0_sel:DWORD src1_sel:WORD_1
	v_fma_f16 v48, v85, v44, -v48
	v_fma_f16 v44, v37, v56, v119
	v_mul_f16_sdwa v37, v36, v66 dst_sel:DWORD dst_unused:UNUSED_PAD src0_sel:DWORD src1_sel:WORD_1
	v_fma_f16 v40, v36, v66, v40
	v_mul_f16_sdwa v36, v38, v67 dst_sel:DWORD dst_unused:UNUSED_PAD src0_sel:DWORD src1_sel:WORD_1
	v_fma_f16 v42, v81, v67, -v36
	v_mul_f16_sdwa v36, v81, v67 dst_sel:DWORD dst_unused:UNUSED_PAD src0_sel:DWORD src1_sel:WORD_1
	v_fma_f16 v51, v86, v45, -v50
	v_fma_f16 v50, v38, v67, v36
	s_waitcnt vmcnt(4)
	v_mul_f16_sdwa v38, v71, v88 dst_sel:DWORD dst_unused:UNUSED_PAD src0_sel:DWORD src1_sel:WORD_1
	v_mul_f16_sdwa v36, v32, v88 dst_sel:DWORD dst_unused:UNUSED_PAD src0_sel:DWORD src1_sel:WORD_1
	v_fma_f16 v38, v32, v88, v38
	v_mul_f16_sdwa v32, v34, v89 dst_sel:DWORD dst_unused:UNUSED_PAD src0_sel:DWORD src1_sel:WORD_1
	v_fma_f16 v41, v82, v57, -v120
	v_fma_f16 v45, v76, v89, -v32
	v_mul_f16_sdwa v32, v76, v89 dst_sel:DWORD dst_unused:UNUSED_PAD src0_sel:DWORD src1_sel:WORD_1
	s_waitcnt vmcnt(3)
	v_mul_f16_sdwa v57, v78, v91 dst_sel:DWORD dst_unused:UNUSED_PAD src0_sel:DWORD src1_sel:WORD_1
	v_fma_f16 v39, v77, v56, -v118
	v_fma_f16 v37, v75, v66, -v37
	v_fma_f16 v56, v34, v89, v32
	v_mul_f16_sdwa v34, v80, v90 dst_sel:DWORD dst_unused:UNUSED_PAD src0_sel:DWORD src1_sel:WORD_1
	v_fma_f16 v66, v33, v91, v57
	s_waitcnt vmcnt(2)
	v_mul_f16_sdwa v57, v74, v92 dst_sel:DWORD dst_unused:UNUSED_PAD src0_sel:DWORD src1_sel:WORD_1
	v_lshlrev_b32_e32 v75, 1, v62
	v_mul_f16_sdwa v32, v35, v90 dst_sel:DWORD dst_unused:UNUSED_PAD src0_sel:DWORD src1_sel:WORD_1
	v_fma_f16 v34, v35, v90, v34
	v_mul_f16_sdwa v35, v33, v91 dst_sel:DWORD dst_unused:UNUSED_PAD src0_sel:DWORD src1_sel:WORD_1
	v_mul_f16_sdwa v33, v31, v92 dst_sel:DWORD dst_unused:UNUSED_PAD src0_sel:DWORD src1_sel:WORD_1
	v_fma_f16 v31, v31, v92, v57
	v_mul_f16_sdwa v57, v30, v93 dst_sel:DWORD dst_unused:UNUSED_PAD src0_sel:DWORD src1_sel:WORD_1
	v_mul_f16_sdwa v62, v72, v93 dst_sel:DWORD dst_unused:UNUSED_PAD src0_sel:DWORD src1_sel:WORD_1
	v_fma_f16 v57, v72, v93, -v57
	v_fma_f16 v72, v30, v93, v62
	s_waitcnt vmcnt(1)
	v_mul_f16_sdwa v62, v73, v94 dst_sel:DWORD dst_unused:UNUSED_PAD src0_sel:DWORD src1_sel:WORD_1
	v_mul_f16_sdwa v30, v29, v94 dst_sel:DWORD dst_unused:UNUSED_PAD src0_sel:DWORD src1_sel:WORD_1
	v_fma_f16 v67, v29, v94, v62
	v_mul_f16_sdwa v29, v28, v95 dst_sel:DWORD dst_unused:UNUSED_PAD src0_sel:DWORD src1_sel:WORD_1
	v_fma_f16 v36, v71, v88, -v36
	v_fma_f16 v71, v70, v95, -v29
	v_mul_f16_sdwa v29, v70, v95 dst_sel:DWORD dst_unused:UNUSED_PAD src0_sel:DWORD src1_sel:WORD_1
	v_fma_f16 v70, v28, v95, v29
	s_waitcnt vmcnt(0)
	v_mul_f16_sdwa v28, v18, v96 dst_sel:DWORD dst_unused:UNUSED_PAD src0_sel:DWORD src1_sel:WORD_1
	v_fma_f16 v62, v54, v96, -v28
	v_mul_f16_sdwa v28, v54, v96 dst_sel:DWORD dst_unused:UNUSED_PAD src0_sel:DWORD src1_sel:WORD_1
	v_fma_f16 v28, v18, v96, v28
	v_mul_f16_sdwa v18, v17, v97 dst_sel:DWORD dst_unused:UNUSED_PAD src0_sel:DWORD src1_sel:WORD_1
	v_fma_f16 v54, v53, v97, -v18
	v_mul_f16_sdwa v18, v53, v97 dst_sel:DWORD dst_unused:UNUSED_PAD src0_sel:DWORD src1_sel:WORD_1
	v_fma_f16 v29, v17, v97, v18
	v_add_f16_e32 v17, v65, v48
	v_fma_f16 v30, v73, v94, -v30
	v_add_f16_e32 v73, v17, v51
	v_add_f16_e32 v17, v48, v51
	v_fma_f16 v17, v17, -0.5, v65
	v_sub_f16_e32 v18, v59, v83
	v_fma_f16 v35, v78, v91, -v35
	v_fma_f16 v65, v18, s6, v17
	v_fma_f16 v78, v18, s7, v17
	v_add_f16_e32 v17, v69, v43
	v_add_f16_e32 v79, v17, v46
	;; [unrolled: 1-line block ×3, first 2 shown]
	v_fma_f16 v17, v17, -0.5, v69
	v_sub_f16_e32 v18, v49, v55
	v_fma_f16 v32, v80, v90, -v32
	v_fma_f16 v69, v18, s6, v17
	v_fma_f16 v80, v18, s7, v17
	v_add_f16_e32 v17, v58, v39
	v_add_f16_e32 v81, v17, v41
	v_add_f16_e32 v17, v39, v41
	v_fma_f16 v17, v17, -0.5, v58
	v_sub_f16_e32 v18, v44, v47
	v_fma_f16 v82, v18, s6, v17
	v_fma_f16 v84, v18, s7, v17
	v_add_f16_e32 v17, v63, v37
	v_add_f16_e32 v85, v17, v42
	v_add_f16_e32 v17, v37, v42
	v_fma_f16 v17, v17, -0.5, v63
	v_sub_f16_e32 v18, v40, v50
	;; [unrolled: 7-line block ×3, first 2 shown]
	v_fma_f16 v68, v18, s6, v17
	v_fma_f16 v89, v18, s7, v17
	v_add_f16_e32 v17, v64, v32
	v_add_f16_e32 v90, v17, v35
	;; [unrolled: 1-line block ×3, first 2 shown]
	v_fma_f16 v33, v74, v92, -v33
	v_fma_f16 v17, v17, -0.5, v64
	v_sub_f16_e32 v18, v34, v66
	v_fma_f16 v91, v18, s6, v17
	v_fma_f16 v92, v18, s7, v17
	v_add_f16_e32 v17, v60, v33
	v_add_f16_e32 v93, v17, v57
	;; [unrolled: 1-line block ×3, first 2 shown]
	v_fma_f16 v17, v17, -0.5, v60
	v_sub_f16_e32 v18, v31, v72
	v_fma_f16 v94, v18, s6, v17
	v_fma_f16 v95, v18, s7, v17
	v_add_f16_e32 v17, v61, v30
	v_add_f16_e32 v96, v17, v71
	;; [unrolled: 1-line block ×3, first 2 shown]
	v_fma_f16 v17, v17, -0.5, v61
	v_sub_f16_e32 v18, v67, v70
	v_lshlrev_b32_e32 v76, 1, v103
	v_fma_f16 v97, v18, s6, v17
	v_fma_f16 v103, v18, s7, v17
	v_add_f16_e32 v17, v62, v54
	v_perm_b32 v60, v100, v99, s2
	v_fma_f16 v17, v17, -0.5, v52
	v_sub_f16_e32 v53, v28, v29
	v_pk_mul_lo_u16 v61, v60, 60 op_sel_hi:[1,0]
	v_fma_f16 v18, v53, s6, v17
	v_fma_f16 v17, v53, s7, v17
	v_mul_u32_u24_e32 v53, 60, v87
	v_mul_u32_u24_e32 v58, 60, v98
	v_and_b32_e32 v60, 0xfffc, v61
	v_lshrrev_b32_e32 v61, 16, v61
	v_add3_u32 v53, 0, v53, v110
	v_add3_u32 v58, 0, v58, v111
	v_add3_u32 v60, 0, v60, v112
	v_add3_u32 v61, 0, v61, v113
	ds_write_b16 v53, v73
	ds_write_b16 v53, v65 offset:20
	ds_write_b16 v53, v78 offset:40
	ds_write_b16 v58, v79
	ds_write_b16 v58, v69 offset:20
	ds_write_b16 v58, v80 offset:40
	;; [unrolled: 3-line block ×4, first 2 shown]
	v_perm_b32 v63, v102, v101, s2
	v_pk_mul_lo_u16 v64, v63, 60 op_sel_hi:[1,0]
	v_perm_b32 v65, v106, v104, s2
	v_and_b32_e32 v63, 0xfffc, v64
	v_add3_u32 v63, 0, v63, v75
	v_pk_mul_lo_u16 v65, v65, 60 op_sel_hi:[1,0]
	v_lshlrev_b32_e32 v77, 1, v105
	v_lshlrev_b32_e32 v74, 1, v107
	ds_write_b16 v63, v88
	ds_write_b16 v63, v68 offset:20
	ds_write_b16 v63, v89 offset:40
	v_lshrrev_b32_e32 v64, 16, v64
	v_and_b32_e32 v68, 0xfffc, v65
	v_lshrrev_b32_e32 v65, 16, v65
	v_add3_u32 v64, 0, v64, v76
	v_add3_u32 v69, 0, v68, v77
	;; [unrolled: 1-line block ×3, first 2 shown]
	v_mul_lo_u16_e32 v65, 30, v108
	v_lshlrev_b32_e32 v68, 1, v109
	ds_write_b16 v64, v90
	ds_write_b16 v64, v91 offset:20
	ds_write_b16 v64, v92 offset:40
	ds_write_b16 v69, v93
	ds_write_b16 v69, v94 offset:20
	ds_write_b16 v69, v95 offset:40
	;; [unrolled: 3-line block ×3, first 2 shown]
	s_and_saveexec_b64 s[2:3], s[0:1]
	s_cbranch_execz .LBB0_25
; %bb.24:
	v_add_f16_e32 v52, v52, v62
	v_lshlrev_b32_e32 v74, 1, v65
	v_add_f16_e32 v52, v52, v54
	v_add3_u32 v74, 0, v68, v74
	ds_write_b16 v74, v52
	ds_write_b16 v74, v18 offset:20
	ds_write_b16 v74, v17 offset:40
.LBB0_25:
	s_or_b64 exec, exec, s[2:3]
	v_add_f16_e32 v52, v25, v59
	v_add_f16_e32 v74, v52, v83
	v_add_f16_e32 v52, v59, v83
	v_fma_f16 v25, v52, -0.5, v25
	v_sub_f16_e32 v48, v48, v51
	v_fma_f16 v59, v48, s7, v25
	v_fma_f16 v75, v48, s6, v25
	v_add_f16_e32 v25, v27, v49
	v_add_f16_e32 v76, v25, v55
	v_add_f16_e32 v25, v49, v55
	v_fma_f16 v25, v25, -0.5, v27
	v_sub_f16_e32 v27, v43, v46
	v_fma_f16 v55, v27, s7, v25
	v_fma_f16 v77, v27, s6, v25
	;; [unrolled: 7-line block ×8, first 2 shown]
	v_add_f16_e32 v19, v28, v29
	v_fma_f16 v19, v19, -0.5, v21
	v_sub_f16_e32 v22, v62, v54
	v_fma_f16 v20, v22, s7, v19
	v_fma_f16 v19, v22, s6, v19
	s_waitcnt lgkmcnt(0)
	s_barrier
	ds_read_u16 v25, v13
	ds_read_u16 v26, v11
	ds_read_u16 v24, v11 offset:360
	ds_read_u16 v40, v11 offset:1260
	;; [unrolled: 1-line block ×18, first 2 shown]
	ds_read_u16 v52, v15
	ds_read_u16 v22, v14
	ds_read_u16 v30, v11 offset:4320
	ds_read_u16 v51, v11 offset:3600
	;; [unrolled: 1-line block ×3, first 2 shown]
	s_waitcnt lgkmcnt(0)
	s_barrier
	ds_write_b16 v53, v74
	ds_write_b16 v53, v59 offset:20
	ds_write_b16 v53, v75 offset:40
	ds_write_b16 v58, v76
	ds_write_b16 v58, v55 offset:20
	ds_write_b16 v58, v77 offset:40
	;; [unrolled: 3-line block ×8, first 2 shown]
	s_and_saveexec_b64 s[2:3], s[0:1]
	s_cbranch_execz .LBB0_27
; %bb.26:
	v_add_f16_e32 v21, v21, v28
	v_lshlrev_b32_e32 v28, 1, v65
	v_add_f16_e32 v21, v21, v29
	v_add3_u32 v28, 0, v68, v28
	ds_write_b16 v28, v21
	ds_write_b16 v28, v20 offset:20
	ds_write_b16 v28, v19 offset:40
.LBB0_27:
	s_or_b64 exec, exec, s[2:3]
	s_movk_i32 s2, 0x89
	v_mul_lo_u16_sdwa v21, v8, s2 dst_sel:DWORD dst_unused:UNUSED_PAD src0_sel:BYTE_0 src1_sel:DWORD
	v_lshrrev_b16_e32 v28, 12, v21
	v_mul_lo_u16_e32 v21, 30, v28
	v_sub_u16_e32 v91, v8, v21
	v_mov_b32_e32 v21, 4
	v_lshlrev_b32_sdwa v29, v21, v91 dst_sel:DWORD dst_unused:UNUSED_PAD src0_sel:DWORD src1_sel:BYTE_0
	s_waitcnt lgkmcnt(0)
	s_barrier
	global_load_dwordx4 v[54:57], v29, s[4:5] offset:80
	v_mul_lo_u16_sdwa v29, v9, s2 dst_sel:DWORD dst_unused:UNUSED_PAD src0_sel:BYTE_0 src1_sel:DWORD
	v_lshrrev_b16_e32 v100, 12, v29
	v_mul_lo_u16_e32 v29, 30, v100
	v_sub_u16_e32 v101, v9, v29
	v_lshlrev_b32_sdwa v21, v21, v101 dst_sel:DWORD dst_unused:UNUSED_PAD src0_sel:DWORD src1_sel:BYTE_0
	s_mov_b32 s2, 0x8889
	global_load_dwordx4 v[58:61], v21, s[4:5] offset:80
	v_mul_u32_u24_sdwa v21, v10, s2 dst_sel:DWORD dst_unused:UNUSED_PAD src0_sel:WORD_0 src1_sel:DWORD
	v_lshrrev_b32_e32 v102, 20, v21
	v_mul_lo_u16_e32 v21, 30, v102
	v_sub_u16_e32 v103, v10, v21
	v_lshlrev_b32_e32 v21, 4, v103
	global_load_dwordx4 v[62:65], v21, s[4:5] offset:80
	v_mul_u32_u24_sdwa v21, v12, s2 dst_sel:DWORD dst_unused:UNUSED_PAD src0_sel:WORD_0 src1_sel:DWORD
	v_lshrrev_b32_e32 v104, 20, v21
	v_mul_lo_u16_e32 v21, 30, v104
	v_sub_u16_e32 v105, v12, v21
	v_lshlrev_b32_e32 v21, 4, v105
	;; [unrolled: 6-line block ×3, first 2 shown]
	ds_read_u16 v35, v13
	ds_read_u16 v50, v11
	ds_read_u16 v32, v11 offset:360
	ds_read_u16 v21, v11 offset:1260
	;; [unrolled: 1-line block ×7, first 2 shown]
	global_load_dwordx4 v[96:99], v31, s[4:5] offset:80
	ds_read_u16 v68, v11 offset:1980
	ds_read_u16 v69, v11 offset:2160
	;; [unrolled: 1-line block ×11, first 2 shown]
	ds_read_u16 v74, v15
	ds_read_u16 v31, v14
	ds_read_u16 v113, v11 offset:4320
	ds_read_u16 v75, v11 offset:3600
	;; [unrolled: 1-line block ×3, first 2 shown]
	s_movk_i32 s7, 0x3b9c
	s_mov_b32 s11, 0xbb9c
	s_movk_i32 s6, 0x38b4
	s_mov_b32 s12, 0xb8b4
	v_mul_u32_u24_e32 v28, 0x12c, v28
	s_waitcnt lgkmcnt(0)
	s_barrier
	s_mov_b32 s3, 0x5040100
	s_movk_i32 s2, 0x12c
	s_waitcnt vmcnt(4)
	v_mul_f16_sdwa v79, v66, v55 dst_sel:DWORD dst_unused:UNUSED_PAD src0_sel:DWORD src1_sel:WORD_1
	v_mul_f16_sdwa v80, v44, v55 dst_sel:DWORD dst_unused:UNUSED_PAD src0_sel:DWORD src1_sel:WORD_1
	;; [unrolled: 1-line block ×3, first 2 shown]
	v_fma_f16 v88, v44, v55, -v79
	v_mul_f16_sdwa v77, v52, v54 dst_sel:DWORD dst_unused:UNUSED_PAD src0_sel:DWORD src1_sel:WORD_1
	v_fma_f16 v85, v73, v56, v83
	v_mul_f16_sdwa v86, v75, v57 dst_sel:DWORD dst_unused:UNUSED_PAD src0_sel:DWORD src1_sel:WORD_1
	s_waitcnt vmcnt(3)
	v_mul_f16_sdwa v44, v72, v61 dst_sel:DWORD dst_unused:UNUSED_PAD src0_sel:DWORD src1_sel:WORD_1
	v_fma_f16 v83, v47, v61, -v44
	v_mul_f16_sdwa v44, v47, v61 dst_sel:DWORD dst_unused:UNUSED_PAD src0_sel:DWORD src1_sel:WORD_1
	v_mul_f16_sdwa v115, v51, v57 dst_sel:DWORD dst_unused:UNUSED_PAD src0_sel:DWORD src1_sel:WORD_1
	;; [unrolled: 1-line block ×3, first 2 shown]
	v_fma_f16 v82, v74, v54, v77
	v_fma_f16 v77, v72, v61, v44
	s_waitcnt vmcnt(2)
	v_mul_f16_sdwa v44, v21, v62 dst_sel:DWORD dst_unused:UNUSED_PAD src0_sel:DWORD src1_sel:WORD_1
	v_mul_f16_sdwa v120, v70, v60 dst_sel:DWORD dst_unused:UNUSED_PAD src0_sel:DWORD src1_sel:WORD_1
	v_fma_f16 v90, v51, v57, -v86
	v_fma_f16 v86, v75, v57, v115
	v_fma_f16 v75, v70, v60, v121
	v_fma_f16 v70, v40, v62, -v44
	v_mul_f16_sdwa v40, v40, v62 dst_sel:DWORD dst_unused:UNUSED_PAD src0_sel:DWORD src1_sel:WORD_1
	v_fma_f16 v62, v21, v62, v40
	v_mul_f16_sdwa v21, v69, v63 dst_sel:DWORD dst_unused:UNUSED_PAD src0_sel:DWORD src1_sel:WORD_1
	v_fma_f16 v72, v43, v63, -v21
	v_mul_f16_sdwa v21, v43, v63 dst_sel:DWORD dst_unused:UNUSED_PAD src0_sel:DWORD src1_sel:WORD_1
	v_mul_f16_sdwa v76, v74, v54 dst_sel:DWORD dst_unused:UNUSED_PAD src0_sel:DWORD src1_sel:WORD_1
	v_fma_f16 v84, v66, v55, v80
	v_fma_f16 v66, v69, v63, v21
	v_mul_f16_sdwa v21, v78, v64 dst_sel:DWORD dst_unused:UNUSED_PAD src0_sel:DWORD src1_sel:WORD_1
	v_mul_f16_sdwa v117, v45, v58 dst_sel:DWORD dst_unused:UNUSED_PAD src0_sel:DWORD src1_sel:WORD_1
	v_fma_f16 v87, v52, v54, -v76
	v_fma_f16 v76, v42, v64, -v21
	v_mul_f16_sdwa v21, v42, v64 dst_sel:DWORD dst_unused:UNUSED_PAD src0_sel:DWORD src1_sel:WORD_1
	v_mul_f16_sdwa v81, v73, v56 dst_sel:DWORD dst_unused:UNUSED_PAD src0_sel:DWORD src1_sel:WORD_1
	;; [unrolled: 1-line block ×3, first 2 shown]
	v_fma_f16 v73, v67, v58, v117
	v_fma_f16 v67, v78, v64, v21
	v_mul_f16_sdwa v21, v110, v65 dst_sel:DWORD dst_unused:UNUSED_PAD src0_sel:DWORD src1_sel:WORD_1
	v_fma_f16 v78, v41, v65, -v21
	v_mul_f16_sdwa v21, v41, v65 dst_sel:DWORD dst_unused:UNUSED_PAD src0_sel:DWORD src1_sel:WORD_1
	v_fma_f16 v69, v110, v65, v21
	s_waitcnt vmcnt(1)
	v_mul_f16_sdwa v21, v53, v92 dst_sel:DWORD dst_unused:UNUSED_PAD src0_sel:DWORD src1_sel:WORD_1
	v_fma_f16 v63, v34, v92, -v21
	v_mul_f16_sdwa v21, v34, v92 dst_sel:DWORD dst_unused:UNUSED_PAD src0_sel:DWORD src1_sel:WORD_1
	v_fma_f16 v55, v53, v92, v21
	v_mul_f16_sdwa v21, v71, v93 dst_sel:DWORD dst_unused:UNUSED_PAD src0_sel:DWORD src1_sel:WORD_1
	v_fma_f16 v65, v39, v93, -v21
	v_mul_f16_sdwa v21, v39, v93 dst_sel:DWORD dst_unused:UNUSED_PAD src0_sel:DWORD src1_sel:WORD_1
	v_mul_f16_sdwa v119, v46, v59 dst_sel:DWORD dst_unused:UNUSED_PAD src0_sel:DWORD src1_sel:WORD_1
	v_fma_f16 v79, v45, v58, -v116
	v_fma_f16 v58, v71, v93, v21
	v_mul_f16_sdwa v21, v109, v94 dst_sel:DWORD dst_unused:UNUSED_PAD src0_sel:DWORD src1_sel:WORD_1
	v_mul_f16_sdwa v118, v68, v59 dst_sel:DWORD dst_unused:UNUSED_PAD src0_sel:DWORD src1_sel:WORD_1
	v_fma_f16 v74, v68, v59, v119
	v_fma_f16 v68, v38, v94, -v21
	v_mul_f16_sdwa v21, v38, v94 dst_sel:DWORD dst_unused:UNUSED_PAD src0_sel:DWORD src1_sel:WORD_1
	v_fma_f16 v80, v46, v59, -v118
	v_fma_f16 v59, v109, v94, v21
	v_mul_f16_sdwa v21, v111, v95 dst_sel:DWORD dst_unused:UNUSED_PAD src0_sel:DWORD src1_sel:WORD_1
	v_fma_f16 v71, v37, v95, -v21
	v_mul_f16_sdwa v21, v37, v95 dst_sel:DWORD dst_unused:UNUSED_PAD src0_sel:DWORD src1_sel:WORD_1
	v_fma_f16 v61, v111, v95, v21
	s_waitcnt vmcnt(0)
	v_mul_f16_sdwa v21, v106, v96 dst_sel:DWORD dst_unused:UNUSED_PAD src0_sel:DWORD src1_sel:WORD_1
	v_fma_f16 v89, v49, v56, -v81
	v_fma_f16 v56, v27, v96, -v21
	v_mul_f16_sdwa v21, v27, v96 dst_sel:DWORD dst_unused:UNUSED_PAD src0_sel:DWORD src1_sel:WORD_1
	v_fma_f16 v49, v106, v96, v21
	v_mul_f16_sdwa v21, v112, v97 dst_sel:DWORD dst_unused:UNUSED_PAD src0_sel:DWORD src1_sel:WORD_1
	v_fma_f16 v57, v33, v97, -v21
	v_mul_f16_sdwa v21, v33, v97 dst_sel:DWORD dst_unused:UNUSED_PAD src0_sel:DWORD src1_sel:WORD_1
	v_fma_f16 v51, v112, v97, v21
	v_mul_f16_sdwa v21, v114, v98 dst_sel:DWORD dst_unused:UNUSED_PAD src0_sel:DWORD src1_sel:WORD_1
	v_fma_f16 v81, v48, v60, -v120
	v_fma_f16 v60, v36, v98, -v21
	v_mul_f16_sdwa v21, v36, v98 dst_sel:DWORD dst_unused:UNUSED_PAD src0_sel:DWORD src1_sel:WORD_1
	v_fma_f16 v52, v114, v98, v21
	v_mul_f16_sdwa v21, v113, v99 dst_sel:DWORD dst_unused:UNUSED_PAD src0_sel:DWORD src1_sel:WORD_1
	v_fma_f16 v64, v30, v99, -v21
	v_mul_f16_sdwa v21, v30, v99 dst_sel:DWORD dst_unused:UNUSED_PAD src0_sel:DWORD src1_sel:WORD_1
	v_fma_f16 v53, v113, v99, v21
	v_add_f16_e32 v21, v26, v87
	v_add_f16_e32 v21, v21, v88
	;; [unrolled: 1-line block ×5, first 2 shown]
	v_fma_f16 v21, v21, -0.5, v26
	v_sub_f16_e32 v30, v82, v86
	v_fma_f16 v33, v30, s7, v21
	v_sub_f16_e32 v34, v84, v85
	v_sub_f16_e32 v36, v87, v88
	v_sub_f16_e32 v37, v90, v89
	v_fma_f16 v21, v30, s11, v21
	v_fma_f16 v33, v34, s6, v33
	v_add_f16_e32 v36, v36, v37
	v_fma_f16 v21, v34, s12, v21
	v_fma_f16 v33, v36, s10, v33
	v_fma_f16 v36, v36, s10, v21
	v_add_f16_e32 v21, v87, v90
	v_fma_f16 v21, v21, -0.5, v26
	v_fma_f16 v26, v34, s11, v21
	v_sub_f16_e32 v37, v88, v87
	v_sub_f16_e32 v38, v89, v90
	v_fma_f16 v21, v34, s7, v21
	v_add_f16_e32 v37, v37, v38
	v_fma_f16 v21, v30, s12, v21
	v_fma_f16 v26, v30, s6, v26
	v_fma_f16 v30, v37, s10, v21
	v_add_f16_e32 v21, v25, v79
	v_add_f16_e32 v21, v21, v80
	v_add_f16_e32 v21, v21, v81
	v_add_f16_e32 v34, v21, v83
	v_add_f16_e32 v21, v80, v81
	v_fma_f16 v26, v37, s10, v26
	v_fma_f16 v21, v21, -0.5, v25
	v_sub_f16_e32 v37, v73, v77
	v_fma_f16 v38, v37, s7, v21
	v_sub_f16_e32 v39, v74, v75
	v_sub_f16_e32 v40, v79, v80
	v_sub_f16_e32 v41, v83, v81
	v_fma_f16 v21, v37, s11, v21
	v_fma_f16 v38, v39, s6, v38
	v_add_f16_e32 v40, v40, v41
	v_fma_f16 v21, v39, s12, v21
	v_fma_f16 v38, v40, s10, v38
	v_fma_f16 v40, v40, s10, v21
	v_add_f16_e32 v21, v79, v83
	v_fma_f16 v21, v21, -0.5, v25
	v_fma_f16 v25, v39, s11, v21
	v_sub_f16_e32 v41, v80, v79
	v_sub_f16_e32 v42, v81, v83
	v_fma_f16 v21, v39, s7, v21
	v_add_f16_e32 v41, v41, v42
	v_fma_f16 v21, v37, s12, v21
	v_fma_f16 v25, v37, s6, v25
	v_fma_f16 v37, v41, s10, v21
	v_add_f16_e32 v21, v24, v70
	v_add_f16_e32 v21, v21, v72
	v_add_f16_e32 v21, v21, v76
	v_add_f16_e32 v39, v21, v78
	v_add_f16_e32 v21, v72, v76
	v_fma_f16 v25, v41, s10, v25
	v_fma_f16 v21, v21, -0.5, v24
	v_sub_f16_e32 v41, v62, v69
	v_fma_f16 v42, v41, s7, v21
	v_sub_f16_e32 v43, v66, v67
	v_sub_f16_e32 v44, v70, v72
	v_sub_f16_e32 v45, v78, v76
	v_fma_f16 v21, v41, s11, v21
	v_fma_f16 v42, v43, s6, v42
	v_add_f16_e32 v44, v44, v45
	v_fma_f16 v21, v43, s12, v21
	v_fma_f16 v42, v44, s10, v42
	v_fma_f16 v44, v44, s10, v21
	v_add_f16_e32 v21, v70, v78
	v_fma_f16 v21, v21, -0.5, v24
	v_fma_f16 v24, v43, s11, v21
	v_sub_f16_e32 v45, v72, v70
	v_sub_f16_e32 v46, v76, v78
	v_fma_f16 v21, v43, s7, v21
	v_add_f16_e32 v45, v45, v46
	v_fma_f16 v21, v41, s12, v21
	v_fma_f16 v24, v41, s6, v24
	v_fma_f16 v41, v45, s10, v21
	v_add_f16_e32 v21, v23, v63
	v_add_f16_e32 v21, v21, v65
	v_add_f16_e32 v21, v21, v68
	v_add_f16_e32 v43, v21, v71
	v_add_f16_e32 v21, v65, v68
	v_fma_f16 v24, v45, s10, v24
	v_fma_f16 v21, v21, -0.5, v23
	v_sub_f16_e32 v45, v55, v61
	v_fma_f16 v46, v45, s7, v21
	v_sub_f16_e32 v47, v58, v59
	v_sub_f16_e32 v48, v63, v65
	v_sub_f16_e32 v54, v71, v68
	v_fma_f16 v21, v45, s11, v21
	v_fma_f16 v46, v47, s6, v46
	v_add_f16_e32 v48, v48, v54
	v_fma_f16 v21, v47, s12, v21
	v_fma_f16 v46, v48, s10, v46
	v_fma_f16 v48, v48, s10, v21
	v_add_f16_e32 v21, v63, v71
	v_fma_f16 v21, v21, -0.5, v23
	v_fma_f16 v23, v47, s11, v21
	v_sub_f16_e32 v54, v65, v63
	v_sub_f16_e32 v92, v68, v71
	v_fma_f16 v21, v47, s7, v21
	v_add_f16_e32 v54, v54, v92
	v_fma_f16 v21, v45, s12, v21
	v_fma_f16 v23, v45, s6, v23
	v_fma_f16 v45, v54, s10, v21
	v_add_f16_e32 v21, v22, v56
	v_add_f16_e32 v21, v21, v57
	v_add_f16_e32 v21, v21, v60
	v_add_f16_e32 v47, v21, v64
	v_add_f16_e32 v21, v57, v60
	v_fma_f16 v23, v54, s10, v23
	v_fma_f16 v21, v21, -0.5, v22
	v_sub_f16_e32 v54, v49, v53
	v_fma_f16 v92, v54, s7, v21
	v_sub_f16_e32 v93, v51, v52
	v_sub_f16_e32 v94, v56, v57
	;; [unrolled: 1-line block ×3, first 2 shown]
	v_fma_f16 v92, v93, s6, v92
	v_add_f16_e32 v94, v94, v95
	v_fma_f16 v97, v94, s10, v92
	v_add_f16_e32 v92, v56, v64
	v_fma_f16 v22, v92, -0.5, v22
	v_fma_f16 v92, v93, s11, v22
	v_fma_f16 v22, v93, s7, v22
	;; [unrolled: 1-line block ×5, first 2 shown]
	v_mov_b32_e32 v54, 1
	v_fma_f16 v21, v93, s12, v21
	v_lshlrev_b32_sdwa v91, v54, v91 dst_sel:DWORD dst_unused:UNUSED_PAD src0_sel:DWORD src1_sel:BYTE_0
	v_fma_f16 v21, v94, s10, v21
	v_sub_f16_e32 v94, v57, v56
	v_sub_f16_e32 v95, v60, v64
	v_add3_u32 v91, 0, v28, v91
	v_add_f16_e32 v94, v94, v95
	ds_write_b16 v91, v27
	ds_write_b16 v91, v33 offset:60
	ds_write_b16 v91, v26 offset:120
	;; [unrolled: 1-line block ×4, first 2 shown]
	v_mul_u32_u24_e32 v26, 0x12c, v100
	v_lshlrev_b32_sdwa v27, v54, v101 dst_sel:DWORD dst_unused:UNUSED_PAD src0_sel:DWORD src1_sel:BYTE_0
	v_fma_f16 v98, v94, s10, v92
	v_add3_u32 v92, 0, v26, v27
	ds_write_b16 v92, v34
	ds_write_b16 v92, v38 offset:60
	ds_write_b16 v92, v25 offset:120
	;; [unrolled: 1-line block ×4, first 2 shown]
	v_perm_b32 v25, v104, v102, s3
	v_pk_mul_lo_u16 v25, v25, s2 op_sel_hi:[1,0]
	v_lshlrev_b32_e32 v27, 1, v103
	v_and_b32_e32 v26, 0xfffc, v25
	v_add3_u32 v93, 0, v26, v27
	ds_write_b16 v93, v39
	ds_write_b16 v93, v42 offset:60
	ds_write_b16 v93, v24 offset:120
	;; [unrolled: 1-line block ×4, first 2 shown]
	v_lshrrev_b32_e32 v24, 16, v25
	v_lshlrev_b32_e32 v25, 1, v105
	v_add3_u32 v95, 0, v24, v25
	ds_write_b16 v95, v43
	ds_write_b16 v95, v46 offset:60
	ds_write_b16 v95, v23 offset:120
	ds_write_b16 v95, v45 offset:180
	ds_write_b16 v95, v48 offset:240
	v_mul_u32_u24_e32 v23, 0x12c, v107
	v_lshlrev_b32_e32 v24, 1, v108
	v_fma_f16 v22, v94, s10, v22
	v_add3_u32 v96, 0, v23, v24
	ds_write_b16 v96, v47
	ds_write_b16 v96, v97 offset:60
	ds_write_b16 v96, v98 offset:120
	;; [unrolled: 1-line block ×4, first 2 shown]
	s_waitcnt lgkmcnt(0)
	s_barrier
	ds_read_u16 v27, v11
	ds_read_u16 v25, v11 offset:360
	ds_read_u16 v45, v11 offset:1680
	;; [unrolled: 1-line block ×11, first 2 shown]
	ds_read_u16 v24, v15
	ds_read_u16 v23, v0
	ds_read_u16 v41, v11 offset:2400
	ds_read_u16 v37, v11 offset:2580
	;; [unrolled: 1-line block ×4, first 2 shown]
	ds_read_u16 v30, v13
	ds_read_u16 v22, v1
	ds_read_u16 v54, v11 offset:3000
	ds_read_u16 v36, v11 offset:2760
	ds_read_u16 v28, v14
	ds_read_u16 v33, v11 offset:4260
	v_lshl_add_u32 v94, v8, 1, 0
	s_and_saveexec_b64 s[2:3], s[0:1]
	s_cbranch_execz .LBB0_29
; %bb.28:
	ds_read_u16 v18, v11 offset:2940
	ds_read_u16 v21, v94 offset:1440
	;; [unrolled: 1-line block ×3, first 2 shown]
.LBB0_29:
	s_or_b64 exec, exec, s[2:3]
	v_add_f16_e32 v98, v84, v85
	v_fma_f16 v98, v98, -0.5, v50
	v_sub_f16_e32 v87, v87, v90
	v_fma_f16 v90, v87, s11, v98
	v_sub_f16_e32 v88, v88, v89
	v_add_f16_e32 v97, v50, v82
	v_fma_f16 v89, v88, s12, v90
	v_sub_f16_e32 v90, v82, v84
	v_sub_f16_e32 v99, v86, v85
	v_fma_f16 v98, v87, s7, v98
	v_add_f16_e32 v97, v97, v84
	v_add_f16_e32 v90, v90, v99
	v_fma_f16 v98, v88, s6, v98
	v_add_f16_e32 v97, v97, v85
	v_fma_f16 v89, v90, s10, v89
	v_fma_f16 v90, v90, s10, v98
	v_add_f16_e32 v98, v82, v86
	v_sub_f16_e32 v82, v84, v82
	v_sub_f16_e32 v84, v85, v86
	v_add_f16_e32 v85, v74, v75
	v_fma_f16 v85, v85, -0.5, v35
	v_sub_f16_e32 v79, v79, v83
	v_fma_f16 v83, v79, s11, v85
	v_sub_f16_e32 v80, v80, v81
	v_add_f16_e32 v97, v97, v86
	v_fma_f16 v50, v98, -0.5, v50
	v_fma_f16 v81, v80, s12, v83
	v_sub_f16_e32 v83, v73, v74
	v_sub_f16_e32 v86, v77, v75
	v_fma_f16 v85, v79, s7, v85
	v_fma_f16 v98, v88, s7, v50
	;; [unrolled: 1-line block ×3, first 2 shown]
	v_add_f16_e32 v83, v83, v86
	v_fma_f16 v85, v80, s6, v85
	v_fma_f16 v98, v87, s12, v98
	v_add_f16_e32 v82, v82, v84
	v_fma_f16 v50, v87, s6, v50
	v_fma_f16 v81, v83, s10, v81
	;; [unrolled: 1-line block ×3, first 2 shown]
	v_add_f16_e32 v85, v73, v77
	v_fma_f16 v84, v82, s10, v98
	v_fma_f16 v50, v82, s10, v50
	v_add_f16_e32 v82, v35, v73
	v_fma_f16 v35, v85, -0.5, v35
	v_add_f16_e32 v82, v82, v74
	v_fma_f16 v85, v80, s7, v35
	v_sub_f16_e32 v73, v74, v73
	v_sub_f16_e32 v74, v75, v77
	v_fma_f16 v35, v80, s11, v35
	v_fma_f16 v85, v79, s12, v85
	v_add_f16_e32 v73, v73, v74
	v_fma_f16 v35, v79, s6, v35
	v_fma_f16 v74, v73, s10, v85
	;; [unrolled: 1-line block ×3, first 2 shown]
	v_add_f16_e32 v35, v32, v62
	v_add_f16_e32 v35, v35, v66
	;; [unrolled: 1-line block ×6, first 2 shown]
	v_fma_f16 v35, v35, -0.5, v32
	v_sub_f16_e32 v70, v70, v78
	v_add_f16_e32 v82, v82, v77
	v_fma_f16 v77, v70, s11, v35
	v_sub_f16_e32 v72, v72, v76
	v_fma_f16 v76, v72, s12, v77
	v_sub_f16_e32 v77, v62, v66
	v_sub_f16_e32 v78, v69, v67
	v_fma_f16 v35, v70, s7, v35
	v_add_f16_e32 v77, v77, v78
	v_fma_f16 v35, v72, s6, v35
	v_fma_f16 v76, v77, s10, v76
	;; [unrolled: 1-line block ×3, first 2 shown]
	v_add_f16_e32 v35, v62, v69
	v_fma_f16 v32, v35, -0.5, v32
	v_fma_f16 v35, v72, s7, v32
	v_sub_f16_e32 v62, v66, v62
	v_sub_f16_e32 v66, v67, v69
	v_fma_f16 v35, v70, s12, v35
	v_add_f16_e32 v62, v62, v66
	v_fma_f16 v66, v62, s10, v35
	v_add_f16_e32 v35, v29, v55
	;; [unrolled: 2-line block ×5, first 2 shown]
	v_add_f16_e32 v35, v58, v59
	v_fma_f16 v35, v35, -0.5, v29
	v_sub_f16_e32 v63, v63, v71
	v_fma_f16 v67, v63, s11, v35
	v_sub_f16_e32 v65, v65, v68
	v_sub_f16_e32 v68, v55, v58
	;; [unrolled: 1-line block ×3, first 2 shown]
	v_fma_f16 v35, v63, s7, v35
	v_fma_f16 v67, v65, s12, v67
	v_add_f16_e32 v68, v68, v69
	v_fma_f16 v35, v65, s6, v35
	v_fma_f16 v67, v68, s10, v67
	;; [unrolled: 1-line block ×3, first 2 shown]
	v_add_f16_e32 v35, v55, v61
	v_fma_f16 v29, v35, -0.5, v29
	v_fma_f16 v35, v65, s7, v29
	v_sub_f16_e32 v55, v58, v55
	v_sub_f16_e32 v58, v59, v61
	v_fma_f16 v35, v63, s12, v35
	v_add_f16_e32 v55, v55, v58
	v_fma_f16 v58, v55, s10, v35
	v_add_f16_e32 v35, v31, v49
	;; [unrolled: 2-line block ×5, first 2 shown]
	v_add_f16_e32 v35, v51, v52
	v_fma_f16 v35, v35, -0.5, v31
	v_sub_f16_e32 v56, v56, v64
	v_fma_f16 v59, v56, s11, v35
	v_sub_f16_e32 v57, v57, v60
	v_sub_f16_e32 v60, v49, v51
	;; [unrolled: 1-line block ×3, first 2 shown]
	v_fma_f16 v35, v56, s7, v35
	v_fma_f16 v59, v57, s12, v59
	v_add_f16_e32 v60, v60, v61
	v_fma_f16 v35, v57, s6, v35
	v_fma_f16 v59, v60, s10, v59
	;; [unrolled: 1-line block ×3, first 2 shown]
	v_add_f16_e32 v60, v49, v53
	v_fma_f16 v31, v60, -0.5, v31
	v_fma_f16 v60, v57, s7, v31
	v_sub_f16_e32 v49, v51, v49
	v_sub_f16_e32 v51, v52, v53
	v_fma_f16 v31, v57, s11, v31
	v_fma_f16 v60, v56, s12, v60
	v_add_f16_e32 v49, v49, v51
	v_fma_f16 v31, v56, s6, v31
	v_fma_f16 v51, v49, s10, v60
	;; [unrolled: 1-line block ×3, first 2 shown]
	s_waitcnt lgkmcnt(0)
	s_barrier
	ds_write_b16 v91, v97
	ds_write_b16 v91, v89 offset:60
	ds_write_b16 v91, v84 offset:120
	ds_write_b16 v91, v50 offset:180
	ds_write_b16 v91, v90 offset:240
	ds_write_b16 v92, v82
	ds_write_b16 v92, v81 offset:60
	ds_write_b16 v92, v74 offset:120
	ds_write_b16 v92, v73 offset:180
	ds_write_b16 v92, v83 offset:240
	;; [unrolled: 5-line block ×5, first 2 shown]
	s_waitcnt lgkmcnt(0)
	s_barrier
	ds_read_u16 v51, v11
	ds_read_u16 v49, v11 offset:360
	ds_read_u16 v66, v11 offset:1680
	;; [unrolled: 1-line block ×11, first 2 shown]
	ds_read_u16 v32, v15
	ds_read_u16 v31, v0
	ds_read_u16 v62, v11 offset:2400
	ds_read_u16 v58, v11 offset:2580
	;; [unrolled: 1-line block ×4, first 2 shown]
	ds_read_u16 v53, v13
	ds_read_u16 v29, v1
	ds_read_u16 v70, v11 offset:3000
	ds_read_u16 v57, v11 offset:2760
	ds_read_u16 v52, v14
	ds_read_u16 v55, v11 offset:4260
	s_and_saveexec_b64 s[2:3], s[0:1]
	s_cbranch_execz .LBB0_31
; %bb.30:
	ds_read_u16 v20, v11 offset:2940
	ds_read_u16 v35, v94 offset:1440
	;; [unrolled: 1-line block ×3, first 2 shown]
.LBB0_31:
	s_or_b64 exec, exec, s[2:3]
	v_lshlrev_b32_e32 v0, 1, v8
	v_mov_b32_e32 v1, 0
	v_subrev_u32_e32 v71, 60, v8
	v_cmp_gt_u32_e64 s[2:3], 60, v8
	v_lshl_add_u64 v[72:73], v[0:1], 2, s[4:5]
	v_mov_b32_e32 v75, v1
	v_cndmask_b32_e64 v71, v71, v9, s[2:3]
	v_mov_b32_e32 v79, v1
	v_lshrrev_b16_e32 v1, 1, v12
	v_lshlrev_b32_e32 v74, 1, v71
	v_mul_u32_u24_e32 v1, 0xda75, v1
	v_lshl_add_u64 v[76:77], v[74:75], 2, s[4:5]
	v_lshrrev_b32_e32 v75, 22, v1
	v_mul_lo_u16_e32 v1, 0x96, v75
	v_sub_u16_e32 v1, v12, v1
	v_lshlrev_b32_e32 v71, 3, v1
	global_load_dwordx2 v[80:81], v71, s[4:5] offset:560
	v_lshrrev_b16_e32 v71, 1, v2
	v_mul_u32_u24_e32 v71, 0xda75, v71
	v_lshrrev_b32_e32 v71, 22, v71
	v_mul_lo_u16_e32 v71, 0x96, v71
	v_sub_u16_e32 v90, v2, v71
	v_lshlrev_b32_e32 v71, 3, v90
	global_load_dwordx2 v[72:73], v[72:73], off offset:560
	v_add_u32_e32 v78, 60, v0
	global_load_dwordx2 v[82:83], v71, s[4:5] offset:560
	v_lshrrev_b16_e32 v71, 1, v7
	global_load_dwordx2 v[76:77], v[76:77], off offset:560
	v_mul_u32_u24_e32 v71, 0xda75, v71
	v_lshrrev_b32_e32 v71, 22, v71
	v_mul_lo_u16_e32 v71, 0x96, v71
	v_sub_u16_e32 v91, v7, v71
	v_lshl_add_u64 v[78:79], v[78:79], 2, s[4:5]
	v_lshlrev_b32_e32 v7, 3, v91
	global_load_dwordx2 v[78:79], v[78:79], off offset:560
	v_lshrrev_b16_e32 v71, 1, v3
	global_load_dwordx2 v[84:85], v7, s[4:5] offset:560
	v_lshrrev_b16_e32 v7, 1, v6
	v_mul_u32_u24_e32 v7, 0xda75, v7
	v_lshrrev_b32_e32 v92, 22, v7
	v_mul_lo_u16_e32 v7, 0x96, v92
	v_mul_u32_u24_e32 v71, 0xda75, v71
	v_sub_u16_e32 v93, v6, v7
	v_lshrrev_b32_e32 v71, 22, v71
	v_lshlrev_b32_e32 v6, 3, v93
	v_mul_lo_u16_e32 v71, 0x96, v71
	global_load_dwordx2 v[6:7], v6, s[4:5] offset:560
	v_sub_u16_e32 v94, v3, v71
	v_lshlrev_b32_e32 v3, 3, v94
	global_load_dwordx2 v[86:87], v3, s[4:5] offset:560
	v_lshrrev_b16_e32 v3, 1, v16
	v_mul_u32_u24_e32 v3, 0xda75, v3
	v_lshrrev_b32_e32 v3, 22, v3
	v_mul_lo_u16_e32 v3, 0x96, v3
	v_sub_u16_e32 v95, v16, v3
	v_lshlrev_b32_e32 v3, 3, v95
	global_load_dwordx2 v[88:89], v3, s[4:5] offset:560
	v_lshlrev_b32_e32 v96, 1, v1
	s_movk_i32 s6, 0x3aee
	s_mov_b32 s7, 0xbaee
	s_waitcnt lgkmcnt(0)
	s_barrier
	v_cmp_lt_u32_e64 s[2:3], 59, v8
	s_waitcnt vmcnt(7)
	v_mul_f16_sdwa v1, v69, v72 dst_sel:DWORD dst_unused:UNUSED_PAD src0_sel:DWORD src1_sel:WORD_1
	v_mul_f16_sdwa v71, v70, v73 dst_sel:DWORD dst_unused:UNUSED_PAD src0_sel:DWORD src1_sel:WORD_1
	;; [unrolled: 1-line block ×3, first 2 shown]
	v_fma_f16 v16, v48, v72, -v1
	s_waitcnt vmcnt(5)
	v_mul_f16_sdwa v1, v66, v76 dst_sel:DWORD dst_unused:UNUSED_PAD src0_sel:DWORD src1_sel:WORD_1
	v_mul_f16_sdwa v3, v48, v72 dst_sel:DWORD dst_unused:UNUSED_PAD src0_sel:DWORD src1_sel:WORD_1
	v_fma_f16 v48, v54, v73, -v71
	v_fma_f16 v54, v70, v73, v97
	v_fma_f16 v70, v45, v76, -v1
	v_mul_f16_sdwa v1, v63, v80 dst_sel:DWORD dst_unused:UNUSED_PAD src0_sel:DWORD src1_sel:WORD_1
	v_fma_f16 v69, v69, v72, v3
	v_mul_f16_sdwa v3, v45, v76 dst_sel:DWORD dst_unused:UNUSED_PAD src0_sel:DWORD src1_sel:WORD_1
	v_mul_f16_sdwa v72, v68, v77 dst_sel:DWORD dst_unused:UNUSED_PAD src0_sel:DWORD src1_sel:WORD_1
	v_fma_f16 v45, v42, v80, -v1
	v_mul_f16_sdwa v1, v44, v81 dst_sel:DWORD dst_unused:UNUSED_PAD src0_sel:DWORD src1_sel:WORD_1
	v_mul_f16_sdwa v73, v47, v77 dst_sel:DWORD dst_unused:UNUSED_PAD src0_sel:DWORD src1_sel:WORD_1
	v_fma_f16 v71, v66, v76, v3
	v_fma_f16 v66, v47, v77, -v72
	v_mul_f16_sdwa v47, v65, v81 dst_sel:DWORD dst_unused:UNUSED_PAD src0_sel:DWORD src1_sel:WORD_1
	v_fma_f16 v65, v65, v81, v1
	v_mul_f16_sdwa v1, v59, v82 dst_sel:DWORD dst_unused:UNUSED_PAD src0_sel:DWORD src1_sel:WORD_1
	v_mul_f16_sdwa v3, v42, v80 dst_sel:DWORD dst_unused:UNUSED_PAD src0_sel:DWORD src1_sel:WORD_1
	v_fma_f16 v42, v38, v82, -v1
	v_mul_f16_sdwa v1, v38, v82 dst_sel:DWORD dst_unused:UNUSED_PAD src0_sel:DWORD src1_sel:WORD_1
	v_fma_f16 v47, v44, v81, -v47
	v_fma_f16 v44, v59, v82, v1
	v_mul_f16_sdwa v1, v61, v83 dst_sel:DWORD dst_unused:UNUSED_PAD src0_sel:DWORD src1_sel:WORD_1
	v_fma_f16 v59, v40, v83, -v1
	v_mul_f16_sdwa v1, v40, v83 dst_sel:DWORD dst_unused:UNUSED_PAD src0_sel:DWORD src1_sel:WORD_1
	v_fma_f16 v61, v61, v83, v1
	s_waitcnt vmcnt(3)
	v_mul_f16_sdwa v1, v62, v84 dst_sel:DWORD dst_unused:UNUSED_PAD src0_sel:DWORD src1_sel:WORD_1
	v_fma_f16 v38, v41, v84, -v1
	v_mul_f16_sdwa v1, v41, v84 dst_sel:DWORD dst_unused:UNUSED_PAD src0_sel:DWORD src1_sel:WORD_1
	v_fma_f16 v40, v62, v84, v1
	v_mul_f16_sdwa v1, v60, v85 dst_sel:DWORD dst_unused:UNUSED_PAD src0_sel:DWORD src1_sel:WORD_1
	v_fma_f16 v41, v39, v85, -v1
	v_mul_f16_sdwa v1, v39, v85 dst_sel:DWORD dst_unused:UNUSED_PAD src0_sel:DWORD src1_sel:WORD_1
	v_fma_f16 v60, v60, v85, v1
	s_waitcnt vmcnt(2)
	v_mul_f16_sdwa v1, v58, v6 dst_sel:DWORD dst_unused:UNUSED_PAD src0_sel:DWORD src1_sel:WORD_1
	v_fma_f16 v39, v37, v6, -v1
	v_mul_f16_sdwa v1, v37, v6 dst_sel:DWORD dst_unused:UNUSED_PAD src0_sel:DWORD src1_sel:WORD_1
	;; [unrolled: 9-line block ×3, first 2 shown]
	v_fma_f16 v36, v57, v86, v1
	v_mul_f16_sdwa v1, v55, v87 dst_sel:DWORD dst_unused:UNUSED_PAD src0_sel:DWORD src1_sel:WORD_1
	v_fma_f16 v56, v33, v87, -v1
	v_mul_f16_sdwa v1, v33, v87 dst_sel:DWORD dst_unused:UNUSED_PAD src0_sel:DWORD src1_sel:WORD_1
	v_fma_f16 v33, v55, v87, v1
	s_waitcnt vmcnt(0)
	v_mul_f16_sdwa v1, v20, v88 dst_sel:DWORD dst_unused:UNUSED_PAD src0_sel:DWORD src1_sel:WORD_1
	v_mul_f16_sdwa v97, v64, v78 dst_sel:DWORD dst_unused:UNUSED_PAD src0_sel:DWORD src1_sel:WORD_1
	;; [unrolled: 1-line block ×3, first 2 shown]
	v_fma_f16 v63, v63, v80, v3
	v_fma_f16 v1, v18, v88, -v1
	v_mul_f16_sdwa v3, v18, v88 dst_sel:DWORD dst_unused:UNUSED_PAD src0_sel:DWORD src1_sel:WORD_1
	v_mul_f16_sdwa v6, v19, v89 dst_sel:DWORD dst_unused:UNUSED_PAD src0_sel:DWORD src1_sel:WORD_1
	;; [unrolled: 1-line block ×3, first 2 shown]
	v_add_f16_e32 v18, v16, v48
	v_mul_f16_sdwa v98, v43, v78 dst_sel:DWORD dst_unused:UNUSED_PAD src0_sel:DWORD src1_sel:WORD_1
	v_mul_f16_sdwa v100, v46, v79 dst_sel:DWORD dst_unused:UNUSED_PAD src0_sel:DWORD src1_sel:WORD_1
	v_fma_f16 v68, v68, v77, v73
	v_fma_f16 v43, v43, v78, -v97
	v_fma_f16 v46, v46, v79, -v99
	;; [unrolled: 1-line block ×3, first 2 shown]
	v_fma_f16 v7, v19, v89, v7
	v_add_f16_e32 v17, v27, v16
	v_fma_f16 v18, v18, -0.5, v27
	v_sub_f16_e32 v19, v69, v54
	v_add_f16_e32 v27, v70, v66
	v_fma_f16 v64, v64, v78, v98
	v_fma_f16 v67, v67, v79, v100
	;; [unrolled: 1-line block ×5, first 2 shown]
	v_add_f16_e32 v19, v30, v70
	v_fma_f16 v27, v27, -0.5, v30
	v_sub_f16_e32 v30, v71, v68
	v_add_f16_e32 v55, v43, v46
	v_fma_f16 v57, v30, s6, v27
	v_fma_f16 v27, v30, s7, v27
	v_add_f16_e32 v30, v25, v43
	v_fma_f16 v25, v55, -0.5, v25
	v_sub_f16_e32 v55, v64, v67
	v_fma_f16 v72, v55, s6, v25
	v_fma_f16 v25, v55, s7, v25
	v_add_f16_e32 v55, v26, v45
	v_add_f16_e32 v73, v55, v47
	v_add_f16_e32 v55, v45, v47
	v_fma_f16 v26, v55, -0.5, v26
	v_sub_f16_e32 v55, v63, v65
	v_fma_f16 v77, v55, s6, v26
	v_fma_f16 v26, v55, s7, v26
	v_add_f16_e32 v55, v28, v42
	v_add_f16_e32 v78, v55, v59
	;; [unrolled: 7-line block ×4, first 2 shown]
	v_add_f16_e32 v55, v39, v58
	v_fma_f16 v23, v55, -0.5, v23
	v_sub_f16_e32 v55, v37, v62
	v_add_f16_e32 v17, v17, v48
	v_fma_f16 v83, v55, s6, v23
	v_fma_f16 v23, v55, s7, v23
	v_add_f16_e32 v55, v22, v34
	v_add_f16_e32 v84, v55, v56
	;; [unrolled: 1-line block ×3, first 2 shown]
	ds_write_b16 v11, v17
	ds_write_b16 v11, v20 offset:300
	ds_write_b16 v11, v18 offset:600
	v_mov_b32_e32 v17, 0x384
	v_fma_f16 v22, v55, -0.5, v22
	v_sub_f16_e32 v55, v36, v33
	v_cndmask_b32_e64 v17, 0, v17, s[2:3]
	v_add_f16_e32 v19, v19, v66
	v_fma_f16 v85, v55, s6, v22
	v_fma_f16 v22, v55, s7, v22
	v_add3_u32 v55, 0, v17, v74
	v_add_f16_e32 v30, v30, v46
	ds_write_b16 v55, v19
	ds_write_b16 v55, v57 offset:300
	ds_write_b16 v55, v27 offset:600
	v_add_u32_e32 v57, 0, v0
	v_mul_u32_u24_e32 v0, 0x384, v75
	v_lshlrev_b32_e32 v76, 1, v93
	ds_write_b16 v57, v30 offset:960
	ds_write_b16 v57, v72 offset:1260
	;; [unrolled: 1-line block ×3, first 2 shown]
	v_add3_u32 v72, 0, v0, v96
	v_mul_u32_u24_e32 v0, 0x384, v92
	ds_write_b16 v72, v73
	ds_write_b16 v72, v77 offset:300
	ds_write_b16 v72, v26 offset:600
	v_lshl_add_u32 v73, v90, 1, 0
	v_lshl_add_u32 v74, v91, 1, 0
	v_add3_u32 v75, 0, v0, v76
	v_lshl_add_u32 v76, v94, 1, 0
	v_lshl_add_u32 v0, v95, 1, 0
	ds_write_b16 v73, v78 offset:1800
	ds_write_b16 v73, v79 offset:2100
	;; [unrolled: 1-line block ×6, first 2 shown]
	ds_write_b16 v75, v82
	ds_write_b16 v75, v83 offset:300
	ds_write_b16 v75, v23 offset:600
	;; [unrolled: 1-line block ×5, first 2 shown]
	s_and_saveexec_b64 s[2:3], s[0:1]
	s_cbranch_execz .LBB0_33
; %bb.32:
	v_add_f16_e32 v17, v1, v6
	v_fma_f16 v17, v17, -0.5, v21
	v_sub_f16_e32 v18, v3, v7
	v_fma_f16 v19, v18, s7, v17
	v_fma_f16 v17, v18, s6, v17
	v_add_f16_e32 v18, v21, v1
	v_add_f16_e32 v18, v18, v6
	ds_write_b16 v0, v18 offset:3600
	ds_write_b16 v0, v17 offset:3900
	;; [unrolled: 1-line block ×3, first 2 shown]
.LBB0_33:
	s_or_b64 exec, exec, s[2:3]
	v_add_f16_e32 v17, v51, v69
	v_add_f16_e32 v77, v17, v54
	v_add_f16_e32 v17, v69, v54
	v_fma_f16 v17, v17, -0.5, v51
	v_sub_f16_e32 v16, v16, v48
	v_fma_f16 v48, v16, s7, v17
	v_fma_f16 v51, v16, s6, v17
	v_add_f16_e32 v16, v53, v71
	v_add_f16_e32 v54, v16, v68
	v_add_f16_e32 v16, v71, v68
	v_fma_f16 v16, v16, -0.5, v53
	v_sub_f16_e32 v17, v70, v66
	v_fma_f16 v53, v17, s7, v16
	v_fma_f16 v66, v17, s6, v16
	;; [unrolled: 7-line block ×8, first 2 shown]
	s_waitcnt lgkmcnt(0)
	s_barrier
	ds_read_u16 v18, v13
	ds_read_u16 v16, v11
	ds_read_u16 v26, v11 offset:360
	ds_read_u16 v29, v11 offset:1260
	;; [unrolled: 1-line block ×18, first 2 shown]
	ds_read_u16 v20, v15
	ds_read_u16 v39, v14
	ds_read_u16 v41, v11 offset:4320
	ds_read_u16 v21, v11 offset:3600
	ds_read_u16 v40, v11 offset:3420
	s_waitcnt lgkmcnt(0)
	s_barrier
	ds_write_b16 v11, v77
	ds_write_b16 v11, v48 offset:300
	ds_write_b16 v11, v51 offset:600
	ds_write_b16 v55, v54
	ds_write_b16 v55, v53 offset:300
	ds_write_b16 v55, v66 offset:600
	;; [unrolled: 1-line block ×5, first 2 shown]
	ds_write_b16 v72, v49
	ds_write_b16 v72, v45 offset:300
	ds_write_b16 v72, v47 offset:600
	;; [unrolled: 1-line block ×8, first 2 shown]
	ds_write_b16 v75, v61
	ds_write_b16 v75, v58 offset:300
	ds_write_b16 v75, v62 offset:600
	;; [unrolled: 1-line block ×5, first 2 shown]
	s_and_saveexec_b64 s[2:3], s[0:1]
	s_cbranch_execz .LBB0_35
; %bb.34:
	v_add_f16_e32 v42, v35, v3
	v_add_f16_e32 v3, v3, v7
	v_fma_f16 v3, v3, -0.5, v35
	v_sub_f16_e32 v1, v1, v6
	s_mov_b32 s0, 0xbaee
	v_add_f16_e32 v42, v42, v7
	v_fma_f16 v6, v1, s0, v3
	s_movk_i32 s0, 0x3aee
	v_fma_f16 v1, v1, s0, v3
	ds_write_b16 v0, v42 offset:3600
	ds_write_b16 v0, v6 offset:3900
	;; [unrolled: 1-line block ×3, first 2 shown]
.LBB0_35:
	s_or_b64 exec, exec, s[2:3]
	s_waitcnt lgkmcnt(0)
	s_barrier
	s_and_saveexec_b64 s[0:1], vcc
	s_cbranch_execz .LBB0_37
; %bb.36:
	v_lshlrev_b32_e32 v6, 2, v2
	v_mov_b32_e32 v7, 0
	v_lshl_add_u64 v[0:1], v[6:7], 2, s[4:5]
	global_load_dwordx4 v[0:3], v[0:1], off offset:1760
	v_lshlrev_b32_e32 v6, 2, v12
	ds_read_u16 v35, v11 offset:3420
	ds_read_u16 v50, v11 offset:1800
	ds_read_u16 v46, v11 offset:1620
	ds_read_u16 v51, v11 offset:1440
	ds_read_u16 v47, v14
	ds_read_u16 v52, v15
	ds_read_u16 v53, v11 offset:3240
	ds_read_u16 v54, v11 offset:3060
	;; [unrolled: 1-line block ×4, first 2 shown]
	v_lshl_add_u64 v[14:15], v[6:7], 2, s[4:5]
	global_load_dwordx4 v[42:45], v[14:15], off offset:1760
	ds_read_u16 v6, v11 offset:4320
	ds_read_u16 v57, v11 offset:4140
	;; [unrolled: 1-line block ×7, first 2 shown]
	s_mov_b32 s2, 0xbb9c
	s_movk_i32 s3, 0x3b9c
	s_movk_i32 s0, 0x38b4
	s_mov_b32 s6, 0xb8b4
	s_movk_i32 s1, 0x34f2
	ds_read_u16 v67, v11 offset:1260
	s_waitcnt vmcnt(1)
	v_lshrrev_b32_e32 v14, 16, v0
	v_lshrrev_b32_e32 v48, 16, v1
	;; [unrolled: 1-line block ×4, first 2 shown]
	s_waitcnt lgkmcnt(2)
	v_mul_f16_e32 v63, v1, v15
	v_mul_f16_e32 v64, v0, v46
	;; [unrolled: 1-line block ×4, first 2 shown]
	v_fma_f16 v63, v38, v48, v63
	v_fma_f16 v64, v36, v14, v64
	;; [unrolled: 1-line block ×4, first 2 shown]
	v_mul_f16_e32 v14, v14, v46
	v_mul_f16_e32 v6, v61, v6
	;; [unrolled: 1-line block ×4, first 2 shown]
	v_sub_f16_e32 v46, v63, v64
	v_sub_f16_e32 v48, v65, v66
	v_fma_f16 v49, v36, v0, -v14
	v_fma_f16 v6, v41, v3, -v6
	v_add_f16_e32 v0, v64, v66
	v_fma_f16 v41, v38, v1, -v15
	v_fma_f16 v40, v40, v2, -v35
	v_sub_f16_e32 v1, v64, v63
	v_sub_f16_e32 v2, v66, v65
	v_add_f16_e32 v3, v63, v65
	v_add_f16_e32 v14, v64, v47
	v_add_f16_e32 v15, v46, v48
	v_sub_f16_e32 v35, v49, v6
	v_fma_f16 v0, v0, -0.5, v47
	v_sub_f16_e32 v36, v41, v40
	v_add_f16_e32 v2, v1, v2
	v_fma_f16 v1, v3, -0.5, v47
	v_add_f16_e32 v3, v63, v14
	v_sub_f16_e32 v14, v41, v49
	v_sub_f16_e32 v46, v40, v6
	v_add_f16_e32 v47, v49, v6
	v_sub_f16_e32 v38, v63, v65
	v_fma_f16 v48, v36, s2, v0
	v_fma_f16 v0, v36, s3, v0
	;; [unrolled: 1-line block ×4, first 2 shown]
	v_add_f16_e32 v3, v65, v3
	v_add_f16_e32 v46, v14, v46
	v_fma_f16 v14, v47, -0.5, v39
	v_sub_f16_e32 v61, v64, v66
	v_fma_f16 v47, v35, s0, v48
	v_fma_f16 v0, v35, s6, v0
	;; [unrolled: 1-line block ×4, first 2 shown]
	v_add_f16_e32 v36, v66, v3
	v_fma_f16 v3, v38, s3, v14
	v_fma_f16 v63, v38, s2, v14
	;; [unrolled: 1-line block ×10, first 2 shown]
	v_sub_f16_e32 v3, v49, v41
	v_sub_f16_e32 v46, v6, v40
	v_add_f16_e32 v46, v3, v46
	v_add_f16_e32 v3, v41, v40
	v_fma_f16 v47, v3, -0.5, v39
	v_add_f16_e32 v39, v39, v49
	v_add_f16_e32 v39, v41, v39
	;; [unrolled: 1-line block ×3, first 2 shown]
	v_fma_f16 v3, v61, s2, v47
	v_fma_f16 v47, v61, s3, v47
	v_add_f16_e32 v39, v39, v6
	v_lshlrev_b32_e32 v6, 2, v10
	v_fma_f16 v3, v38, s6, v3
	v_fma_f16 v38, v38, s0, v47
	v_lshl_add_u64 v[40:41], v[6:7], 2, s[4:5]
	v_fma_f16 v3, v46, s1, v3
	v_fma_f16 v38, v46, s1, v38
	global_load_dwordx4 v[46:49], v[40:41], off offset:1760
	s_waitcnt vmcnt(1)
	v_lshrrev_b32_e32 v61, 16, v42
	v_lshrrev_b32_e32 v65, 16, v45
	v_mul_f16_e32 v40, v42, v51
	v_mul_f16_e32 v51, v61, v51
	v_fma_f16 v40, v32, v61, v40
	v_mul_f16_e32 v69, v45, v57
	v_fma_f16 v32, v32, v42, -v51
	v_mul_f16_e32 v42, v65, v57
	ds_read_u16 v66, v11 offset:2160
	v_fma_f16 v69, v37, v65, v69
	v_fma_f16 v37, v37, v45, -v42
	ds_read_u16 v42, v11 offset:540
	v_lshrrev_b32_e32 v63, 16, v43
	v_lshrrev_b32_e32 v64, 16, v44
	s_waitcnt lgkmcnt(3)
	v_mul_f16_e32 v6, v43, v62
	v_mul_f16_e32 v62, v63, v62
	v_fma_f16 v6, v33, v63, v6
	v_mul_f16_e32 v68, v44, v53
	v_fma_f16 v33, v33, v43, -v62
	v_mul_f16_e32 v43, v64, v53
	v_fma_f16 v68, v34, v64, v68
	v_add_f16_e32 v51, v40, v69
	v_fma_f16 v34, v34, v44, -v43
	s_waitcnt lgkmcnt(0)
	v_fma_f16 v51, v51, -0.5, v42
	v_sub_f16_e32 v43, v33, v34
	v_sub_f16_e32 v41, v6, v40
	;; [unrolled: 1-line block ×4, first 2 shown]
	v_fma_f16 v44, v43, s2, v51
	v_fma_f16 v51, v43, s3, v51
	v_add_f16_e32 v41, v41, v70
	v_fma_f16 v44, v45, s0, v44
	v_fma_f16 v51, v45, s6, v51
	;; [unrolled: 1-line block ×4, first 2 shown]
	v_sub_f16_e32 v41, v40, v6
	v_sub_f16_e32 v53, v69, v68
	v_add_f16_e32 v41, v41, v53
	v_add_f16_e32 v53, v6, v68
	v_fma_f16 v53, v53, -0.5, v42
	v_fma_f16 v62, v45, s3, v53
	v_fma_f16 v45, v45, s2, v53
	v_fma_f16 v62, v43, s0, v62
	v_fma_f16 v43, v43, s6, v45
	v_fma_f16 v62, v41, s1, v62
	v_fma_f16 v45, v41, s1, v43
	v_add_f16_e32 v41, v40, v42
	v_add_f16_e32 v41, v6, v41
	;; [unrolled: 1-line block ×4, first 2 shown]
	v_sub_f16_e32 v41, v33, v32
	v_sub_f16_e32 v42, v34, v37
	v_add_f16_e32 v41, v41, v42
	v_add_f16_e32 v42, v32, v37
	v_fma_f16 v42, v42, -0.5, v31
	v_sub_f16_e32 v6, v6, v68
	v_fma_f16 v43, v6, s3, v42
	v_sub_f16_e32 v40, v40, v69
	v_fma_f16 v42, v6, s2, v42
	v_fma_f16 v43, v40, s6, v43
	;; [unrolled: 1-line block ×5, first 2 shown]
	v_sub_f16_e32 v41, v32, v33
	v_sub_f16_e32 v42, v37, v34
	v_add_f16_e32 v41, v41, v42
	v_add_f16_e32 v42, v33, v34
	v_fma_f16 v42, v42, -0.5, v31
	v_fma_f16 v43, v40, s2, v42
	v_fma_f16 v40, v40, s3, v42
	;; [unrolled: 1-line block ×5, first 2 shown]
	v_add_f16_e32 v6, v31, v32
	v_add_f16_e32 v6, v33, v6
	v_add_f16_e32 v6, v6, v34
	ds_read_u16 v57, v11 offset:1080
	ds_read_u16 v61, v11 offset:360
	v_add_f16_e32 v31, v6, v37
	v_lshlrev_b32_e32 v6, 2, v9
	v_lshl_add_u64 v[32:33], v[6:7], 2, s[4:5]
	s_waitcnt vmcnt(0)
	v_lshrrev_b32_e32 v9, 16, v47
	v_mul_f16_e32 v37, v47, v66
	v_fma_f16 v65, v41, s1, v43
	global_load_dwordx4 v[40:43], v[32:33], off offset:1760
	v_lshrrev_b32_e32 v6, 16, v46
	v_lshrrev_b32_e32 v32, 16, v48
	;; [unrolled: 1-line block ×3, first 2 shown]
	v_fma_f16 v37, v27, v9, v37
	v_mul_f16_e32 v69, v46, v67
	v_mul_f16_e32 v72, v49, v58
	;; [unrolled: 1-line block ×3, first 2 shown]
	v_fma_f16 v69, v29, v6, v69
	v_mul_f16_e32 v71, v48, v54
	v_fma_f16 v72, v30, v33, v72
	v_mul_f16_e32 v6, v6, v67
	v_fma_f16 v9, v27, v47, -v9
	v_mul_f16_e32 v27, v32, v54
	v_fma_f16 v71, v28, v32, v71
	v_fma_f16 v6, v29, v46, -v6
	v_mul_f16_e32 v29, v33, v58
	v_add_f16_e32 v33, v69, v72
	v_fma_f16 v32, v28, v48, -v27
	v_fma_f16 v30, v30, v49, -v29
	s_waitcnt lgkmcnt(0)
	v_fma_f16 v33, v33, -0.5, v61
	v_sub_f16_e32 v27, v9, v32
	v_sub_f16_e32 v70, v37, v69
	;; [unrolled: 1-line block ×4, first 2 shown]
	v_fma_f16 v28, v27, s2, v33
	v_add_f16_e32 v70, v70, v73
	v_fma_f16 v28, v29, s0, v28
	v_fma_f16 v46, v70, s1, v28
	;; [unrolled: 1-line block ×5, first 2 shown]
	v_sub_f16_e32 v28, v69, v37
	v_sub_f16_e32 v47, v72, v71
	v_add_f16_e32 v28, v28, v47
	v_add_f16_e32 v47, v37, v71
	v_fma_f16 v47, v47, -0.5, v61
	v_fma_f16 v48, v29, s3, v47
	v_fma_f16 v29, v29, s2, v47
	;; [unrolled: 1-line block ×5, first 2 shown]
	v_add_f16_e32 v27, v69, v61
	v_add_f16_e32 v27, v37, v27
	;; [unrolled: 1-line block ×3, first 2 shown]
	v_fma_f16 v48, v28, s1, v48
	v_add_f16_e32 v49, v72, v27
	v_sub_f16_e32 v27, v9, v6
	v_sub_f16_e32 v28, v32, v30
	v_add_f16_e32 v27, v27, v28
	v_add_f16_e32 v28, v6, v30
	v_fma_f16 v28, v28, -0.5, v26
	v_sub_f16_e32 v29, v37, v71
	v_fma_f16 v37, v29, s3, v28
	v_sub_f16_e32 v54, v69, v72
	v_fma_f16 v28, v29, s2, v28
	v_fma_f16 v37, v54, s6, v37
	;; [unrolled: 1-line block ×5, first 2 shown]
	v_sub_f16_e32 v27, v6, v9
	v_sub_f16_e32 v28, v30, v32
	v_add_f16_e32 v27, v27, v28
	v_add_f16_e32 v28, v9, v32
	v_fma_f16 v28, v28, -0.5, v26
	v_add_f16_e32 v6, v26, v6
	v_fma_f16 v61, v54, s2, v28
	v_fma_f16 v28, v54, s3, v28
	v_add_f16_e32 v9, v9, v6
	v_lshlrev_b32_e32 v6, 2, v8
	v_fma_f16 v61, v29, s6, v61
	v_fma_f16 v28, v29, s0, v28
	v_lshl_add_u64 v[6:7], v[6:7], 2, s[4:5]
	v_fma_f16 v61, v27, s1, v61
	v_fma_f16 v54, v27, s1, v28
	global_load_dwordx4 v[26:29], v[6:7], off offset:1760
	ds_read_u16 v34, v11 offset:1980
	ds_read_u16 v11, v11
	ds_read_u16 v13, v13
	v_add_f16_e32 v6, v9, v32
	s_waitcnt vmcnt(1)
	v_lshrrev_b32_e32 v7, 16, v41
	s_waitcnt lgkmcnt(2)
	v_mul_f16_e32 v66, v41, v34
	v_add_f16_e32 v9, v6, v30
	v_lshrrev_b32_e32 v6, 16, v40
	v_lshrrev_b32_e32 v30, 16, v42
	;; [unrolled: 1-line block ×3, first 2 shown]
	v_fma_f16 v66, v22, v7, v66
	v_mul_f16_e32 v67, v40, v57
	v_mul_f16_e32 v70, v42, v55
	;; [unrolled: 1-line block ×4, first 2 shown]
	v_fma_f16 v67, v24, v6, v67
	v_fma_f16 v70, v23, v30, v70
	;; [unrolled: 1-line block ×3, first 2 shown]
	v_mul_f16_e32 v6, v6, v57
	v_fma_f16 v7, v22, v41, -v7
	v_mul_f16_e32 v22, v30, v55
	v_fma_f16 v6, v24, v40, -v6
	v_mul_f16_e32 v24, v32, v59
	v_add_f16_e32 v32, v67, v71
	v_fma_f16 v22, v23, v42, -v22
	v_sub_f16_e32 v34, v67, v66
	v_sub_f16_e32 v40, v71, v70
	v_fma_f16 v24, v25, v43, -v24
	s_waitcnt lgkmcnt(0)
	v_fma_f16 v32, v32, -0.5, v13
	v_sub_f16_e32 v23, v7, v22
	v_add_f16_e32 v34, v34, v40
	v_add_f16_e32 v40, v66, v70
	v_sub_f16_e32 v25, v6, v24
	v_fma_f16 v30, v23, s2, v32
	v_fma_f16 v32, v23, s3, v32
	v_fma_f16 v40, v40, -0.5, v13
	v_fma_f16 v30, v25, s0, v30
	v_fma_f16 v32, v25, s6, v32
	;; [unrolled: 1-line block ×8, first 2 shown]
	v_sub_f16_e32 v25, v7, v6
	v_sub_f16_e32 v34, v22, v24
	v_add_f16_e32 v25, v25, v34
	v_add_f16_e32 v34, v6, v24
	v_fma_f16 v34, v34, -0.5, v18
	v_sub_f16_e32 v40, v66, v70
	v_fma_f16 v42, v40, s3, v34
	v_sub_f16_e32 v43, v67, v71
	v_fma_f16 v34, v40, s2, v34
	v_fma_f16 v42, v43, s6, v42
	;; [unrolled: 1-line block ×5, first 2 shown]
	v_sub_f16_e32 v34, v6, v7
	v_sub_f16_e32 v55, v24, v22
	v_add_f16_e32 v34, v34, v55
	v_add_f16_e32 v55, v7, v22
	v_fma_f16 v55, v55, -0.5, v18
	v_fma_f16 v57, v43, s2, v55
	v_fma_f16 v43, v43, s3, v55
	v_add_f16_e32 v6, v18, v6
	v_fma_f16 v57, v40, s6, v57
	v_fma_f16 v40, v40, s0, v43
	v_add_f16_e32 v6, v7, v6
	v_add_f16_e32 v13, v67, v13
	v_fma_f16 v57, v34, s1, v57
	v_fma_f16 v34, v34, s1, v40
	v_add_f16_e32 v6, v6, v22
	v_sub_f16_e32 v69, v66, v67
	v_add_f16_e32 v13, v66, v13
	v_add_f16_e32 v18, v6, v24
	v_sub_f16_e32 v72, v70, v71
	v_add_f16_e32 v69, v69, v72
	v_fma_f16 v30, v69, s1, v30
	v_fma_f16 v32, v69, s1, v32
	s_waitcnt vmcnt(0)
	v_lshrrev_b32_e32 v7, 16, v27
	v_mul_f16_e32 v40, v27, v50
	v_lshrrev_b32_e32 v6, 16, v26
	v_lshrrev_b32_e32 v22, 16, v28
	;; [unrolled: 1-line block ×3, first 2 shown]
	v_fma_f16 v40, v17, v7, v40
	v_mul_f16_e32 v43, v26, v52
	v_mul_f16_e32 v59, v28, v56
	;; [unrolled: 1-line block ×4, first 2 shown]
	v_fma_f16 v43, v20, v6, v43
	v_fma_f16 v59, v19, v22, v59
	;; [unrolled: 1-line block ×3, first 2 shown]
	v_mul_f16_e32 v6, v6, v52
	v_fma_f16 v7, v17, v27, -v7
	v_mul_f16_e32 v17, v22, v56
	v_fma_f16 v6, v20, v26, -v6
	v_mul_f16_e32 v20, v24, v60
	v_add_f16_e32 v24, v43, v66
	v_fma_f16 v17, v19, v28, -v17
	v_sub_f16_e32 v26, v43, v40
	v_sub_f16_e32 v27, v66, v59
	v_fma_f16 v20, v21, v29, -v20
	v_fma_f16 v24, v24, -0.5, v11
	v_sub_f16_e32 v19, v7, v17
	v_add_f16_e32 v26, v26, v27
	v_add_f16_e32 v27, v40, v59
	v_sub_f16_e32 v21, v6, v20
	v_fma_f16 v22, v19, s2, v24
	v_fma_f16 v24, v19, s3, v24
	v_fma_f16 v27, v27, -0.5, v11
	v_fma_f16 v22, v21, s0, v22
	v_fma_f16 v24, v21, s6, v24
	;; [unrolled: 1-line block ×8, first 2 shown]
	v_sub_f16_e32 v21, v7, v6
	v_sub_f16_e32 v26, v17, v20
	v_add_f16_e32 v21, v21, v26
	v_add_f16_e32 v26, v6, v20
	;; [unrolled: 1-line block ×3, first 2 shown]
	v_fma_f16 v26, v26, -0.5, v16
	v_sub_f16_e32 v27, v40, v59
	v_sub_f16_e32 v55, v40, v43
	v_add_f16_e32 v11, v40, v11
	v_fma_f16 v29, v27, s3, v26
	v_sub_f16_e32 v40, v43, v66
	v_fma_f16 v26, v27, s2, v26
	v_fma_f16 v29, v40, s6, v29
	;; [unrolled: 1-line block ×5, first 2 shown]
	v_sub_f16_e32 v26, v6, v7
	v_sub_f16_e32 v43, v20, v17
	v_add_f16_e32 v26, v26, v43
	v_add_f16_e32 v43, v7, v17
	v_fma_f16 v43, v43, -0.5, v16
	v_add_f16_e32 v6, v16, v6
	v_sub_f16_e32 v67, v59, v66
	v_fma_f16 v50, v40, s2, v43
	v_fma_f16 v40, v40, s3, v43
	v_add_f16_e32 v6, v7, v6
	v_add_f16_e32 v55, v55, v67
	v_fma_f16 v50, v27, s6, v50
	v_fma_f16 v27, v27, s0, v40
	v_add_f16_e32 v6, v6, v17
	v_fma_f16 v22, v55, s1, v22
	v_fma_f16 v24, v55, s1, v24
	;; [unrolled: 1-line block ×4, first 2 shown]
	v_add_f16_e32 v20, v6, v20
	v_mad_u64_u32 v[6:7], s[0:1], s8, v8, 0
	v_mov_b32_e32 v16, v7
	v_add_f16_e32 v11, v59, v11
	v_mad_u64_u32 v[16:17], s[0:1], s9, v8, v[16:17]
	v_add_f16_e32 v11, v66, v11
	v_mov_b32_e32 v7, v16
	v_lshl_add_u64 v[6:7], v[6:7], 2, v[4:5]
	v_pack_b32_f16 v11, v20, v11
	global_store_dword v[6:7], v11, off
	v_add_u32_e32 v11, 0x1c2, v8
	v_mad_u64_u32 v[6:7], s[0:1], s8, v11, 0
	v_mov_b32_e32 v16, v7
	v_mad_u64_u32 v[16:17], s[0:1], s9, v11, v[16:17]
	v_mov_b32_e32 v7, v16
	v_lshl_add_u64 v[6:7], v[6:7], 2, v[4:5]
	v_pack_b32_f16 v11, v26, v19
	global_store_dword v[6:7], v11, off
	v_add_u32_e32 v11, 0x384, v8
	v_mad_u64_u32 v[6:7], s[0:1], s8, v11, 0
	v_mov_b32_e32 v16, v7
	v_mad_u64_u32 v[16:17], s[0:1], s9, v11, v[16:17]
	;; [unrolled: 8-line block ×4, first 2 shown]
	v_mov_b32_e32 v7, v16
	v_lshl_add_u64 v[6:7], v[6:7], 2, v[4:5]
	v_pack_b32_f16 v11, v50, v28
	global_store_dword v[6:7], v11, off
	v_add_u32_e32 v11, 0x5a, v8
	v_mad_u64_u32 v[6:7], s[0:1], s8, v11, 0
	v_mov_b32_e32 v16, v7
	v_add_f16_e32 v13, v70, v13
	v_mad_u64_u32 v[16:17], s[0:1], s9, v11, v[16:17]
	v_add_f16_e32 v13, v71, v13
	v_mov_b32_e32 v7, v16
	v_lshl_add_u64 v[6:7], v[6:7], 2, v[4:5]
	v_pack_b32_f16 v11, v18, v13
	global_store_dword v[6:7], v11, off
	v_add_u32_e32 v11, 0x21c, v8
	v_mad_u64_u32 v[6:7], s[0:1], s8, v11, 0
	v_mov_b32_e32 v16, v7
	v_mad_u64_u32 v[16:17], s[0:1], s9, v11, v[16:17]
	v_mov_b32_e32 v7, v16
	v_lshl_add_u64 v[6:7], v[6:7], 2, v[4:5]
	v_pack_b32_f16 v11, v34, v23
	global_store_dword v[6:7], v11, off
	v_add_u32_e32 v11, 0x3de, v8
	v_mad_u64_u32 v[6:7], s[0:1], s8, v11, 0
	v_mov_b32_e32 v16, v7
	v_mad_u64_u32 v[16:17], s[0:1], s9, v11, v[16:17]
	;; [unrolled: 8-line block ×4, first 2 shown]
	v_mov_b32_e32 v7, v16
	v_lshl_add_u64 v[6:7], v[6:7], 2, v[4:5]
	v_pack_b32_f16 v11, v57, v41
	s_mov_b32 s3, 0x91a2b3c5
	global_store_dword v[6:7], v11, off
	v_mul_hi_u32 v6, v10, s3
	s_movk_i32 s2, 0x708
	v_lshrrev_b32_e32 v6, 8, v6
	v_mad_u32_u24 v13, v6, s2, v10
	v_mad_u64_u32 v[6:7], s[0:1], s8, v13, 0
	v_mov_b32_e32 v10, v7
	v_mad_u64_u32 v[10:11], s[0:1], s9, v13, v[10:11]
	v_mov_b32_e32 v7, v10
	v_lshl_add_u64 v[6:7], v[6:7], 2, v[4:5]
	v_pack_b32_f16 v9, v9, v49
	global_store_dword v[6:7], v9, off
	v_add_u32_e32 v9, 0x1c2, v13
	v_mad_u64_u32 v[6:7], s[0:1], s8, v9, 0
	v_mov_b32_e32 v10, v7
	v_mad_u64_u32 v[10:11], s[0:1], s9, v9, v[10:11]
	v_mov_b32_e32 v7, v10
	v_lshl_add_u64 v[6:7], v[6:7], 2, v[4:5]
	v_pack_b32_f16 v9, v54, v47
	global_store_dword v[6:7], v9, off
	v_add_u32_e32 v9, 0x384, v13
	;; [unrolled: 8-line block ×4, first 2 shown]
	v_mad_u64_u32 v[6:7], s[0:1], s8, v9, 0
	v_mov_b32_e32 v10, v7
	v_mad_u64_u32 v[10:11], s[0:1], s9, v9, v[10:11]
	v_mov_b32_e32 v7, v10
	v_lshl_add_u64 v[6:7], v[6:7], 2, v[4:5]
	v_pack_b32_f16 v9, v61, v48
	global_store_dword v[6:7], v9, off
	v_mul_hi_u32 v6, v12, s3
	v_lshrrev_b32_e32 v6, 8, v6
	v_mad_u32_u24 v9, v6, s2, v12
	v_mad_u64_u32 v[6:7], s[0:1], s8, v9, 0
	v_mov_b32_e32 v10, v7
	v_mad_u64_u32 v[10:11], s[0:1], s9, v9, v[10:11]
	v_mov_b32_e32 v7, v10
	v_lshl_add_u64 v[6:7], v[6:7], 2, v[4:5]
	v_pack_b32_f16 v10, v31, v53
	v_add_u32_e32 v11, 0x1c2, v9
	global_store_dword v[6:7], v10, off
	v_mad_u64_u32 v[6:7], s[0:1], s8, v11, 0
	v_mov_b32_e32 v10, v7
	v_mad_u64_u32 v[10:11], s[0:1], s9, v11, v[10:11]
	v_mov_b32_e32 v7, v10
	v_lshl_add_u64 v[6:7], v[6:7], 2, v[4:5]
	v_pack_b32_f16 v10, v68, v45
	v_add_u32_e32 v11, 0x384, v9
	global_store_dword v[6:7], v10, off
	;; [unrolled: 8-line block ×4, first 2 shown]
	v_mad_u64_u32 v[6:7], s[0:1], s8, v9, 0
	v_mov_b32_e32 v10, v7
	v_mad_u64_u32 v[10:11], s[0:1], s9, v9, v[10:11]
	v_mov_b32_e32 v7, v10
	v_lshl_add_u64 v[6:7], v[6:7], 2, v[4:5]
	v_pack_b32_f16 v9, v65, v62
	global_store_dword v[6:7], v9, off
	v_add_u32_e32 v6, 0x168, v8
	v_mul_hi_u32 v7, v6, s3
	v_lshrrev_b32_e32 v7, 8, v7
	v_mad_u32_u24 v10, v7, s2, v6
	v_mad_u64_u32 v[6:7], s[0:1], s8, v10, 0
	v_mov_b32_e32 v8, v7
	v_mad_u64_u32 v[8:9], s[0:1], s9, v10, v[8:9]
	v_mov_b32_e32 v7, v8
	v_lshl_add_u64 v[6:7], v[6:7], 2, v[4:5]
	v_pack_b32_f16 v8, v39, v36
	v_add_u32_e32 v9, 0x1c2, v10
	global_store_dword v[6:7], v8, off
	v_mad_u64_u32 v[6:7], s[0:1], s8, v9, 0
	v_mov_b32_e32 v8, v7
	v_mad_u64_u32 v[8:9], s[0:1], s9, v9, v[8:9]
	v_mov_b32_e32 v7, v8
	v_lshl_add_u64 v[6:7], v[6:7], 2, v[4:5]
	v_pack_b32_f16 v8, v38, v35
	v_add_u32_e32 v9, 0x384, v10
	global_store_dword v[6:7], v8, off
	;; [unrolled: 8-line block ×3, first 2 shown]
	v_mad_u64_u32 v[6:7], s[0:1], s8, v9, 0
	v_mov_b32_e32 v8, v7
	v_mad_u64_u32 v[8:9], s[0:1], s9, v9, v[8:9]
	v_mov_b32_e32 v7, v8
	v_lshl_add_u64 v[6:7], v[6:7], 2, v[4:5]
	v_pack_b32_f16 v1, v2, v1
	global_store_dword v[6:7], v1, off
	v_add_u32_e32 v1, 0x708, v10
	v_mad_u64_u32 v[6:7], s[0:1], s8, v1, 0
	v_mov_b32_e32 v2, v7
	v_mad_u64_u32 v[8:9], s[0:1], s9, v1, v[2:3]
	v_mov_b32_e32 v7, v8
	v_lshl_add_u64 v[4:5], v[6:7], 2, v[4:5]
	v_pack_b32_f16 v0, v3, v0
	global_store_dword v[4:5], v0, off
.LBB0_37:
	s_endpgm
	.section	.rodata,"a",@progbits
	.p2align	6, 0x0
	.amdhsa_kernel fft_rtc_fwd_len2250_factors_10_3_5_3_5_wgs_90_tpt_90_halfLds_half_ip_CI_sbrr_dirReg
		.amdhsa_group_segment_fixed_size 0
		.amdhsa_private_segment_fixed_size 0
		.amdhsa_kernarg_size 88
		.amdhsa_user_sgpr_count 2
		.amdhsa_user_sgpr_dispatch_ptr 0
		.amdhsa_user_sgpr_queue_ptr 0
		.amdhsa_user_sgpr_kernarg_segment_ptr 1
		.amdhsa_user_sgpr_dispatch_id 0
		.amdhsa_user_sgpr_kernarg_preload_length 0
		.amdhsa_user_sgpr_kernarg_preload_offset 0
		.amdhsa_user_sgpr_private_segment_size 0
		.amdhsa_uses_dynamic_stack 0
		.amdhsa_enable_private_segment 0
		.amdhsa_system_sgpr_workgroup_id_x 1
		.amdhsa_system_sgpr_workgroup_id_y 0
		.amdhsa_system_sgpr_workgroup_id_z 0
		.amdhsa_system_sgpr_workgroup_info 0
		.amdhsa_system_vgpr_workitem_id 0
		.amdhsa_next_free_vgpr 122
		.amdhsa_next_free_sgpr 24
		.amdhsa_accum_offset 124
		.amdhsa_reserve_vcc 1
		.amdhsa_float_round_mode_32 0
		.amdhsa_float_round_mode_16_64 0
		.amdhsa_float_denorm_mode_32 3
		.amdhsa_float_denorm_mode_16_64 3
		.amdhsa_dx10_clamp 1
		.amdhsa_ieee_mode 1
		.amdhsa_fp16_overflow 0
		.amdhsa_tg_split 0
		.amdhsa_exception_fp_ieee_invalid_op 0
		.amdhsa_exception_fp_denorm_src 0
		.amdhsa_exception_fp_ieee_div_zero 0
		.amdhsa_exception_fp_ieee_overflow 0
		.amdhsa_exception_fp_ieee_underflow 0
		.amdhsa_exception_fp_ieee_inexact 0
		.amdhsa_exception_int_div_zero 0
	.end_amdhsa_kernel
	.text
.Lfunc_end0:
	.size	fft_rtc_fwd_len2250_factors_10_3_5_3_5_wgs_90_tpt_90_halfLds_half_ip_CI_sbrr_dirReg, .Lfunc_end0-fft_rtc_fwd_len2250_factors_10_3_5_3_5_wgs_90_tpt_90_halfLds_half_ip_CI_sbrr_dirReg
                                        ; -- End function
	.section	.AMDGPU.csdata,"",@progbits
; Kernel info:
; codeLenInByte = 19604
; NumSgprs: 30
; NumVgprs: 122
; NumAgprs: 0
; TotalNumVgprs: 122
; ScratchSize: 0
; MemoryBound: 0
; FloatMode: 240
; IeeeMode: 1
; LDSByteSize: 0 bytes/workgroup (compile time only)
; SGPRBlocks: 3
; VGPRBlocks: 15
; NumSGPRsForWavesPerEU: 30
; NumVGPRsForWavesPerEU: 122
; AccumOffset: 124
; Occupancy: 4
; WaveLimiterHint : 1
; COMPUTE_PGM_RSRC2:SCRATCH_EN: 0
; COMPUTE_PGM_RSRC2:USER_SGPR: 2
; COMPUTE_PGM_RSRC2:TRAP_HANDLER: 0
; COMPUTE_PGM_RSRC2:TGID_X_EN: 1
; COMPUTE_PGM_RSRC2:TGID_Y_EN: 0
; COMPUTE_PGM_RSRC2:TGID_Z_EN: 0
; COMPUTE_PGM_RSRC2:TIDIG_COMP_CNT: 0
; COMPUTE_PGM_RSRC3_GFX90A:ACCUM_OFFSET: 30
; COMPUTE_PGM_RSRC3_GFX90A:TG_SPLIT: 0
	.text
	.p2alignl 6, 3212836864
	.fill 256, 4, 3212836864
	.type	__hip_cuid_b4aae46693169f8,@object ; @__hip_cuid_b4aae46693169f8
	.section	.bss,"aw",@nobits
	.globl	__hip_cuid_b4aae46693169f8
__hip_cuid_b4aae46693169f8:
	.byte	0                               ; 0x0
	.size	__hip_cuid_b4aae46693169f8, 1

	.ident	"AMD clang version 19.0.0git (https://github.com/RadeonOpenCompute/llvm-project roc-6.4.0 25133 c7fe45cf4b819c5991fe208aaa96edf142730f1d)"
	.section	".note.GNU-stack","",@progbits
	.addrsig
	.addrsig_sym __hip_cuid_b4aae46693169f8
	.amdgpu_metadata
---
amdhsa.kernels:
  - .agpr_count:     0
    .args:
      - .actual_access:  read_only
        .address_space:  global
        .offset:         0
        .size:           8
        .value_kind:     global_buffer
      - .offset:         8
        .size:           8
        .value_kind:     by_value
      - .actual_access:  read_only
        .address_space:  global
        .offset:         16
        .size:           8
        .value_kind:     global_buffer
      - .actual_access:  read_only
        .address_space:  global
        .offset:         24
        .size:           8
        .value_kind:     global_buffer
      - .offset:         32
        .size:           8
        .value_kind:     by_value
      - .actual_access:  read_only
        .address_space:  global
        .offset:         40
        .size:           8
        .value_kind:     global_buffer
      - .actual_access:  read_only
        .address_space:  global
        .offset:         48
        .size:           8
        .value_kind:     global_buffer
      - .offset:         56
        .size:           4
        .value_kind:     by_value
      - .actual_access:  read_only
        .address_space:  global
        .offset:         64
        .size:           8
        .value_kind:     global_buffer
      - .actual_access:  read_only
        .address_space:  global
        .offset:         72
        .size:           8
        .value_kind:     global_buffer
      - .address_space:  global
        .offset:         80
        .size:           8
        .value_kind:     global_buffer
    .group_segment_fixed_size: 0
    .kernarg_segment_align: 8
    .kernarg_segment_size: 88
    .language:       OpenCL C
    .language_version:
      - 2
      - 0
    .max_flat_workgroup_size: 90
    .name:           fft_rtc_fwd_len2250_factors_10_3_5_3_5_wgs_90_tpt_90_halfLds_half_ip_CI_sbrr_dirReg
    .private_segment_fixed_size: 0
    .sgpr_count:     30
    .sgpr_spill_count: 0
    .symbol:         fft_rtc_fwd_len2250_factors_10_3_5_3_5_wgs_90_tpt_90_halfLds_half_ip_CI_sbrr_dirReg.kd
    .uniform_work_group_size: 1
    .uses_dynamic_stack: false
    .vgpr_count:     122
    .vgpr_spill_count: 0
    .wavefront_size: 64
amdhsa.target:   amdgcn-amd-amdhsa--gfx950
amdhsa.version:
  - 1
  - 2
...

	.end_amdgpu_metadata
